;; amdgpu-corpus repo=ROCm/rocFFT kind=compiled arch=gfx906 opt=O3
	.text
	.amdgcn_target "amdgcn-amd-amdhsa--gfx906"
	.amdhsa_code_object_version 6
	.protected	fft_rtc_back_len273_factors_13_3_7_wgs_52_tpt_13_dp_op_CI_CI_unitstride_sbrr_dirReg ; -- Begin function fft_rtc_back_len273_factors_13_3_7_wgs_52_tpt_13_dp_op_CI_CI_unitstride_sbrr_dirReg
	.globl	fft_rtc_back_len273_factors_13_3_7_wgs_52_tpt_13_dp_op_CI_CI_unitstride_sbrr_dirReg
	.p2align	8
	.type	fft_rtc_back_len273_factors_13_3_7_wgs_52_tpt_13_dp_op_CI_CI_unitstride_sbrr_dirReg,@function
fft_rtc_back_len273_factors_13_3_7_wgs_52_tpt_13_dp_op_CI_CI_unitstride_sbrr_dirReg: ; @fft_rtc_back_len273_factors_13_3_7_wgs_52_tpt_13_dp_op_CI_CI_unitstride_sbrr_dirReg
; %bb.0:
	s_load_dwordx4 s[8:11], s[4:5], 0x58
	s_load_dwordx4 s[12:15], s[4:5], 0x0
	;; [unrolled: 1-line block ×3, first 2 shown]
	v_mul_u32_u24_e32 v1, 0x13b2, v0
	v_lshrrev_b32_e32 v7, 16, v1
	v_mov_b32_e32 v3, 0
	s_waitcnt lgkmcnt(0)
	v_cmp_lt_u64_e64 s[0:1], s[14:15], 2
	v_mov_b32_e32 v1, 0
	v_lshl_add_u32 v5, s6, 2, v7
	v_mov_b32_e32 v6, v3
	s_and_b64 vcc, exec, s[0:1]
	v_mov_b32_e32 v2, 0
	s_cbranch_vccnz .LBB0_8
; %bb.1:
	s_load_dwordx2 s[0:1], s[4:5], 0x10
	s_add_u32 s2, s18, 8
	s_addc_u32 s3, s19, 0
	s_add_u32 s6, s16, 8
	v_mov_b32_e32 v1, 0
	s_addc_u32 s7, s17, 0
	v_mov_b32_e32 v2, 0
	s_waitcnt lgkmcnt(0)
	s_add_u32 s20, s0, 8
	v_mov_b32_e32 v89, v2
	s_addc_u32 s21, s1, 0
	s_mov_b64 s[22:23], 1
	v_mov_b32_e32 v88, v1
.LBB0_2:                                ; =>This Inner Loop Header: Depth=1
	s_load_dwordx2 s[24:25], s[20:21], 0x0
                                        ; implicit-def: $vgpr91_vgpr92
	s_waitcnt lgkmcnt(0)
	v_or_b32_e32 v4, s25, v6
	v_cmp_ne_u64_e32 vcc, 0, v[3:4]
	s_and_saveexec_b64 s[0:1], vcc
	s_xor_b64 s[26:27], exec, s[0:1]
	s_cbranch_execz .LBB0_4
; %bb.3:                                ;   in Loop: Header=BB0_2 Depth=1
	v_cvt_f32_u32_e32 v4, s24
	v_cvt_f32_u32_e32 v8, s25
	s_sub_u32 s0, 0, s24
	s_subb_u32 s1, 0, s25
	v_mac_f32_e32 v4, 0x4f800000, v8
	v_rcp_f32_e32 v4, v4
	v_mul_f32_e32 v4, 0x5f7ffffc, v4
	v_mul_f32_e32 v8, 0x2f800000, v4
	v_trunc_f32_e32 v8, v8
	v_mac_f32_e32 v4, 0xcf800000, v8
	v_cvt_u32_f32_e32 v8, v8
	v_cvt_u32_f32_e32 v4, v4
	v_mul_lo_u32 v9, s0, v8
	v_mul_hi_u32 v10, s0, v4
	v_mul_lo_u32 v12, s1, v4
	v_mul_lo_u32 v11, s0, v4
	v_add_u32_e32 v9, v10, v9
	v_add_u32_e32 v9, v9, v12
	v_mul_hi_u32 v10, v4, v11
	v_mul_lo_u32 v12, v4, v9
	v_mul_hi_u32 v14, v4, v9
	v_mul_hi_u32 v13, v8, v11
	v_mul_lo_u32 v11, v8, v11
	v_mul_hi_u32 v15, v8, v9
	v_add_co_u32_e32 v10, vcc, v10, v12
	v_addc_co_u32_e32 v12, vcc, 0, v14, vcc
	v_mul_lo_u32 v9, v8, v9
	v_add_co_u32_e32 v10, vcc, v10, v11
	v_addc_co_u32_e32 v10, vcc, v12, v13, vcc
	v_addc_co_u32_e32 v11, vcc, 0, v15, vcc
	v_add_co_u32_e32 v9, vcc, v10, v9
	v_addc_co_u32_e32 v10, vcc, 0, v11, vcc
	v_add_co_u32_e32 v4, vcc, v4, v9
	v_addc_co_u32_e32 v8, vcc, v8, v10, vcc
	v_mul_lo_u32 v9, s0, v8
	v_mul_hi_u32 v10, s0, v4
	v_mul_lo_u32 v11, s1, v4
	v_mul_lo_u32 v12, s0, v4
	v_add_u32_e32 v9, v10, v9
	v_add_u32_e32 v9, v9, v11
	v_mul_lo_u32 v13, v4, v9
	v_mul_hi_u32 v14, v4, v12
	v_mul_hi_u32 v15, v4, v9
	;; [unrolled: 1-line block ×3, first 2 shown]
	v_mul_lo_u32 v12, v8, v12
	v_mul_hi_u32 v10, v8, v9
	v_add_co_u32_e32 v13, vcc, v14, v13
	v_addc_co_u32_e32 v14, vcc, 0, v15, vcc
	v_mul_lo_u32 v9, v8, v9
	v_add_co_u32_e32 v12, vcc, v13, v12
	v_addc_co_u32_e32 v11, vcc, v14, v11, vcc
	v_addc_co_u32_e32 v10, vcc, 0, v10, vcc
	v_add_co_u32_e32 v9, vcc, v11, v9
	v_addc_co_u32_e32 v10, vcc, 0, v10, vcc
	v_add_co_u32_e32 v4, vcc, v4, v9
	v_addc_co_u32_e32 v10, vcc, v8, v10, vcc
	v_mad_u64_u32 v[8:9], s[0:1], v5, v10, 0
	v_mul_hi_u32 v11, v5, v4
	v_add_co_u32_e32 v12, vcc, v11, v8
	v_addc_co_u32_e32 v13, vcc, 0, v9, vcc
	v_mad_u64_u32 v[8:9], s[0:1], v6, v4, 0
	v_mad_u64_u32 v[10:11], s[0:1], v6, v10, 0
	v_add_co_u32_e32 v4, vcc, v12, v8
	v_addc_co_u32_e32 v4, vcc, v13, v9, vcc
	v_addc_co_u32_e32 v8, vcc, 0, v11, vcc
	v_add_co_u32_e32 v4, vcc, v4, v10
	v_addc_co_u32_e32 v10, vcc, 0, v8, vcc
	v_mul_lo_u32 v11, s25, v4
	v_mul_lo_u32 v12, s24, v10
	v_mad_u64_u32 v[8:9], s[0:1], s24, v4, 0
	v_add3_u32 v9, v9, v12, v11
	v_sub_u32_e32 v11, v6, v9
	v_mov_b32_e32 v12, s25
	v_sub_co_u32_e32 v8, vcc, v5, v8
	v_subb_co_u32_e64 v11, s[0:1], v11, v12, vcc
	v_subrev_co_u32_e64 v12, s[0:1], s24, v8
	v_subbrev_co_u32_e64 v11, s[0:1], 0, v11, s[0:1]
	v_cmp_le_u32_e64 s[0:1], s25, v11
	v_cndmask_b32_e64 v13, 0, -1, s[0:1]
	v_cmp_le_u32_e64 s[0:1], s24, v12
	v_cndmask_b32_e64 v12, 0, -1, s[0:1]
	v_cmp_eq_u32_e64 s[0:1], s25, v11
	v_cndmask_b32_e64 v11, v13, v12, s[0:1]
	v_add_co_u32_e64 v12, s[0:1], 2, v4
	v_addc_co_u32_e64 v13, s[0:1], 0, v10, s[0:1]
	v_add_co_u32_e64 v14, s[0:1], 1, v4
	v_addc_co_u32_e64 v15, s[0:1], 0, v10, s[0:1]
	v_subb_co_u32_e32 v9, vcc, v6, v9, vcc
	v_cmp_ne_u32_e64 s[0:1], 0, v11
	v_cmp_le_u32_e32 vcc, s25, v9
	v_cndmask_b32_e64 v11, v15, v13, s[0:1]
	v_cndmask_b32_e64 v13, 0, -1, vcc
	v_cmp_le_u32_e32 vcc, s24, v8
	v_cndmask_b32_e64 v8, 0, -1, vcc
	v_cmp_eq_u32_e32 vcc, s25, v9
	v_cndmask_b32_e32 v8, v13, v8, vcc
	v_cmp_ne_u32_e32 vcc, 0, v8
	v_cndmask_b32_e64 v8, v14, v12, s[0:1]
	v_cndmask_b32_e32 v92, v10, v11, vcc
	v_cndmask_b32_e32 v91, v4, v8, vcc
.LBB0_4:                                ;   in Loop: Header=BB0_2 Depth=1
	s_andn2_saveexec_b64 s[0:1], s[26:27]
	s_cbranch_execz .LBB0_6
; %bb.5:                                ;   in Loop: Header=BB0_2 Depth=1
	v_cvt_f32_u32_e32 v4, s24
	s_sub_i32 s26, 0, s24
	v_mov_b32_e32 v92, v3
	v_rcp_iflag_f32_e32 v4, v4
	v_mul_f32_e32 v4, 0x4f7ffffe, v4
	v_cvt_u32_f32_e32 v4, v4
	v_mul_lo_u32 v8, s26, v4
	v_mul_hi_u32 v8, v4, v8
	v_add_u32_e32 v4, v4, v8
	v_mul_hi_u32 v4, v5, v4
	v_mul_lo_u32 v8, v4, s24
	v_add_u32_e32 v9, 1, v4
	v_sub_u32_e32 v8, v5, v8
	v_subrev_u32_e32 v10, s24, v8
	v_cmp_le_u32_e32 vcc, s24, v8
	v_cndmask_b32_e32 v8, v8, v10, vcc
	v_cndmask_b32_e32 v4, v4, v9, vcc
	v_add_u32_e32 v9, 1, v4
	v_cmp_le_u32_e32 vcc, s24, v8
	v_cndmask_b32_e32 v91, v4, v9, vcc
.LBB0_6:                                ;   in Loop: Header=BB0_2 Depth=1
	s_or_b64 exec, exec, s[0:1]
	v_mul_lo_u32 v4, v92, s24
	v_mul_lo_u32 v10, v91, s25
	v_mad_u64_u32 v[8:9], s[0:1], v91, s24, 0
	s_load_dwordx2 s[0:1], s[6:7], 0x0
	s_load_dwordx2 s[24:25], s[2:3], 0x0
	v_add3_u32 v4, v9, v10, v4
	v_sub_co_u32_e32 v5, vcc, v5, v8
	v_subb_co_u32_e32 v4, vcc, v6, v4, vcc
	s_waitcnt lgkmcnt(0)
	v_mul_lo_u32 v6, s0, v4
	v_mul_lo_u32 v8, s1, v5
	v_mad_u64_u32 v[1:2], s[0:1], s0, v5, v[1:2]
	v_mul_lo_u32 v4, s24, v4
	v_mul_lo_u32 v9, s25, v5
	v_mad_u64_u32 v[88:89], s[0:1], s24, v5, v[88:89]
	s_add_u32 s22, s22, 1
	s_addc_u32 s23, s23, 0
	s_add_u32 s2, s2, 8
	v_add3_u32 v89, v9, v89, v4
	s_addc_u32 s3, s3, 0
	v_mov_b32_e32 v4, s14
	s_add_u32 s6, s6, 8
	v_mov_b32_e32 v5, s15
	s_addc_u32 s7, s7, 0
	v_cmp_ge_u64_e32 vcc, s[22:23], v[4:5]
	s_add_u32 s20, s20, 8
	v_add3_u32 v2, v8, v2, v6
	s_addc_u32 s21, s21, 0
	s_cbranch_vccnz .LBB0_9
; %bb.7:                                ;   in Loop: Header=BB0_2 Depth=1
	v_mov_b32_e32 v5, v91
	v_mov_b32_e32 v6, v92
	s_branch .LBB0_2
.LBB0_8:
	v_mov_b32_e32 v89, v2
	v_mov_b32_e32 v92, v6
	;; [unrolled: 1-line block ×4, first 2 shown]
.LBB0_9:
	s_load_dwordx2 s[4:5], s[4:5], 0x28
	s_lshl_b64 s[6:7], s[14:15], 3
	s_add_u32 s2, s18, s6
	s_addc_u32 s3, s19, s7
	v_and_b32_e32 v3, 3, v7
	s_waitcnt lgkmcnt(0)
	v_cmp_gt_u64_e64 s[0:1], s[4:5], v[91:92]
	v_cmp_le_u64_e32 vcc, s[4:5], v[91:92]
                                        ; implicit-def: $vgpr90
                                        ; implicit-def: $vgpr146
	s_and_saveexec_b64 s[4:5], vcc
	s_xor_b64 s[4:5], exec, s[4:5]
; %bb.10:
	s_mov_b32 s14, 0x13b13b14
	v_mul_hi_u32 v1, v0, s14
	v_mul_u32_u24_e32 v1, 13, v1
	v_sub_u32_e32 v90, v0, v1
	v_add_u32_e32 v146, 13, v90
                                        ; implicit-def: $vgpr0
                                        ; implicit-def: $vgpr1_vgpr2
; %bb.11:
	s_or_saveexec_b64 s[4:5], s[4:5]
	v_mul_u32_u24_e32 v3, 0x111, v3
	v_lshlrev_b32_e32 v147, 4, v3
	s_xor_b64 exec, exec, s[4:5]
	s_cbranch_execz .LBB0_13
; %bb.12:
	s_add_u32 s6, s16, s6
	s_addc_u32 s7, s17, s7
	s_load_dwordx2 s[6:7], s[6:7], 0x0
	s_mov_b32 s14, 0x13b13b14
	v_mul_hi_u32 v5, v0, s14
	s_waitcnt lgkmcnt(0)
	v_mul_lo_u32 v6, s7, v91
	v_mul_lo_u32 v7, s6, v92
	v_mad_u64_u32 v[3:4], s[6:7], s6, v91, 0
	v_mul_u32_u24_e32 v5, 13, v5
	v_sub_u32_e32 v90, v0, v5
	v_add3_u32 v4, v4, v7, v6
	v_lshlrev_b64 v[3:4], 4, v[3:4]
	v_mov_b32_e32 v0, s9
	v_add_co_u32_e32 v3, vcc, s8, v3
	v_addc_co_u32_e32 v4, vcc, v0, v4, vcc
	v_lshlrev_b64 v[0:1], 4, v[1:2]
	v_lshlrev_b32_e32 v93, 4, v90
	v_add_co_u32_e32 v0, vcc, v3, v0
	v_addc_co_u32_e32 v1, vcc, v4, v1, vcc
	v_add_co_u32_e32 v84, vcc, v0, v93
	v_addc_co_u32_e32 v85, vcc, 0, v1, vcc
	v_add_co_u32_e32 v86, vcc, 0x1000, v84
	global_load_dwordx4 v[0:3], v[84:85], off
	global_load_dwordx4 v[4:7], v[84:85], off offset:208
	global_load_dwordx4 v[8:11], v[84:85], off offset:416
	;; [unrolled: 1-line block ×17, first 2 shown]
	v_addc_co_u32_e32 v87, vcc, 0, v85, vcc
	global_load_dwordx4 v[72:75], v[84:85], off offset:3744
	global_load_dwordx4 v[76:79], v[84:85], off offset:3952
	;; [unrolled: 1-line block ×3, first 2 shown]
	v_add_u32_e32 v146, 13, v90
	v_add3_u32 v84, 0, v147, v93
	s_waitcnt vmcnt(20)
	ds_write_b128 v84, v[0:3]
	s_waitcnt vmcnt(19)
	ds_write_b128 v84, v[4:7] offset:208
	s_waitcnt vmcnt(18)
	ds_write_b128 v84, v[8:11] offset:416
	;; [unrolled: 2-line block ×20, first 2 shown]
.LBB0_13:
	s_or_b64 exec, exec, s[4:5]
	v_add_u32_e32 v143, 0, v147
	v_lshlrev_b32_e32 v0, 4, v90
	v_add_u32_e32 v145, v143, v0
	v_add_u32_e32 v0, 0, v0
	;; [unrolled: 1-line block ×3, first 2 shown]
	s_load_dwordx2 s[2:3], s[2:3], 0x0
	s_waitcnt lgkmcnt(0)
	; wave barrier
	s_waitcnt lgkmcnt(0)
	ds_read_b128 v[56:59], v144 offset:336
	ds_read_b128 v[52:55], v145
	ds_read_b128 v[0:3], v144 offset:208
	ds_read_b128 v[44:47], v144 offset:544
	ds_read_b128 v[60:63], v144 offset:672
	ds_read_b128 v[48:51], v144 offset:880
	ds_read_b128 v[12:15], v144 offset:1008
	ds_read_b128 v[40:43], v144 offset:1216
	s_waitcnt lgkmcnt(6)
	v_add_f64 v[4:5], v[52:53], v[56:57]
	v_add_f64 v[6:7], v[54:55], v[58:59]
	ds_read_b128 v[8:11], v144 offset:1344
	ds_read_b128 v[36:39], v144 offset:1552
	s_mov_b32 s22, 0x4267c47c
	s_mov_b32 s24, 0x42a4c3d2
	;; [unrolled: 1-line block ×4, first 2 shown]
	s_waitcnt lgkmcnt(5)
	v_add_f64 v[4:5], v[4:5], v[60:61]
	v_add_f64 v[6:7], v[6:7], v[62:63]
	s_mov_b32 s23, 0xbfddbe06
	s_mov_b32 s25, 0xbfea55e2
	;; [unrolled: 1-line block ×6, first 2 shown]
	s_waitcnt lgkmcnt(3)
	v_add_f64 v[4:5], v[4:5], v[12:13]
	v_add_f64 v[6:7], v[6:7], v[14:15]
	ds_read_b128 v[32:35], v144 offset:1888
	s_mov_b32 s6, 0xebaa3ed8
	s_mov_b32 s4, 0xb2365da1
	;; [unrolled: 1-line block ×5, first 2 shown]
	s_waitcnt lgkmcnt(2)
	v_add_f64 v[16:17], v[4:5], v[8:9]
	v_add_f64 v[18:19], v[6:7], v[10:11]
	ds_read_b128 v[4:7], v144 offset:1680
	s_mov_b32 s5, 0xbfd6b1d8
	s_mov_b32 s37, 0x3fddbe06
	;; [unrolled: 1-line block ×5, first 2 shown]
	s_waitcnt lgkmcnt(0)
	v_add_f64 v[24:25], v[16:17], v[4:5]
	v_add_f64 v[26:27], v[18:19], v[6:7]
	ds_read_b128 v[16:19], v144 offset:2016
	ds_read_b128 v[28:31], v144 offset:2224
	;; [unrolled: 1-line block ×3, first 2 shown]
	s_mov_b32 s28, 0x24c2f84
	s_mov_b32 s30, 0x4bc48dbf
	;; [unrolled: 1-line block ×4, first 2 shown]
	s_waitcnt lgkmcnt(2)
	v_add_f64 v[72:73], v[24:25], v[16:17]
	v_add_f64 v[74:75], v[26:27], v[18:19]
	ds_read_b128 v[64:67], v144 offset:3696
	ds_read_b128 v[24:27], v144 offset:2560
	;; [unrolled: 1-line block ×3, first 2 shown]
	s_waitcnt lgkmcnt(3)
	v_add_f64 v[93:94], v[16:17], v[20:21]
	v_add_f64 v[95:96], v[18:19], v[22:23]
	v_add_f64 v[97:98], v[16:17], -v[20:21]
	v_add_f64 v[99:100], v[18:19], -v[22:23]
	v_add_f64 v[72:73], v[72:73], v[20:21]
	v_add_f64 v[76:77], v[74:75], v[22:23]
	ds_read_b128 v[20:23], v144 offset:2896
	ds_read_b128 v[16:19], v144 offset:3024
	s_waitcnt lgkmcnt(2)
	v_add_f64 v[101:102], v[4:5], v[68:69]
	v_add_f64 v[103:104], v[6:7], v[70:71]
	v_add_f64 v[105:106], v[4:5], -v[68:69]
	v_add_f64 v[107:108], v[6:7], -v[70:71]
	ds_read_b128 v[4:7], v144 offset:3232
	v_add_f64 v[78:79], v[72:73], v[68:69]
	v_add_f64 v[76:77], v[76:77], v[70:71]
	ds_read_b128 v[72:75], v144 offset:3360
	ds_read_b128 v[68:71], v144 offset:4032
	s_waitcnt lgkmcnt(3)
	v_add_f64 v[109:110], v[8:9], v[16:17]
	v_add_f64 v[111:112], v[10:11], v[18:19]
	v_add_f64 v[113:114], v[8:9], -v[16:17]
	v_add_f64 v[115:116], v[10:11], -v[18:19]
	v_add_f64 v[78:79], v[78:79], v[16:17]
	v_add_f64 v[76:77], v[76:77], v[18:19]
	ds_read_b128 v[16:19], v144 offset:3904
	ds_read_b128 v[8:11], v144 offset:3568
	s_waitcnt lgkmcnt(3)
	v_add_f64 v[117:118], v[12:13], v[72:73]
	v_add_f64 v[121:122], v[12:13], -v[72:73]
	s_waitcnt lgkmcnt(2)
	v_add_f64 v[80:81], v[58:59], -v[70:71]
	v_add_f64 v[127:128], v[62:63], v[66:67]
	v_add_f64 v[131:132], v[62:63], -v[66:67]
	v_add_f64 v[62:63], v[78:79], v[72:73]
	v_add_f64 v[72:73], v[76:77], v[74:75]
	v_add_f64 v[119:120], v[14:15], v[74:75]
	v_add_f64 v[123:124], v[14:15], -v[74:75]
	v_add_f64 v[125:126], v[60:61], v[64:65]
	v_add_f64 v[129:130], v[60:61], -v[64:65]
	v_add_f64 v[60:61], v[56:57], v[68:69]
	v_mul_f64 v[74:75], v[80:81], s[22:23]
	v_add_f64 v[76:77], v[58:59], v[70:71]
	v_mul_f64 v[58:59], v[80:81], s[24:25]
	v_add_f64 v[78:79], v[56:57], -v[68:69]
	v_mul_f64 v[56:57], v[80:81], s[20:21]
	v_mul_f64 v[82:83], v[80:81], s[26:27]
	v_add_f64 v[62:63], v[62:63], v[64:65]
	v_add_f64 v[64:65], v[72:73], v[66:67]
	v_fma_f64 v[66:67], v[60:61], s[16:17], v[74:75]
	v_fma_f64 v[72:73], v[60:61], s[16:17], -v[74:75]
	v_fma_f64 v[74:75], v[60:61], s[8:9], v[58:59]
	v_fma_f64 v[84:85], v[60:61], s[8:9], -v[58:59]
	;; [unrolled: 2-line block ×3, first 2 shown]
	v_add_f64 v[56:57], v[62:63], v[68:69]
	v_add_f64 v[58:59], v[64:65], v[70:71]
	v_fma_f64 v[68:69], v[60:61], s[4:5], v[82:83]
	v_fma_f64 v[70:71], v[60:61], s[4:5], -v[82:83]
	v_mul_f64 v[82:83], v[76:77], s[16:17]
	v_mul_f64 v[141:142], v[131:132], s[24:25]
	;; [unrolled: 1-line block ×3, first 2 shown]
	v_add_f64 v[66:67], v[52:53], v[66:67]
	v_mul_f64 v[158:159], v[123:124], s[20:21]
	v_mul_f64 v[160:161], v[119:120], s[6:7]
	s_mov_b32 s39, 0x3fefc445
	s_mov_b32 s38, s20
	v_fma_f64 v[137:138], v[78:79], s[36:37], v[82:83]
	v_fma_f64 v[154:155], v[125:126], s[8:9], v[141:142]
	;; [unrolled: 1-line block ×3, first 2 shown]
	v_mul_f64 v[62:63], v[80:81], s[28:29]
	v_mul_f64 v[64:65], v[80:81], s[30:31]
	;; [unrolled: 1-line block ×4, first 2 shown]
	s_mov_b32 s18, 0xd0032e0c
	v_add_f64 v[137:138], v[54:55], v[137:138]
	v_add_f64 v[66:67], v[154:155], v[66:67]
	v_fma_f64 v[154:155], v[117:118], s[6:7], v[158:159]
	s_mov_b32 s14, 0x93053d00
	s_mov_b32 s19, 0xbfe7f3cc
	;; [unrolled: 1-line block ×5, first 2 shown]
	v_add_f64 v[137:138], v[156:157], v[137:138]
	v_fma_f64 v[156:157], v[121:122], s[38:39], v[160:161]
	v_fma_f64 v[80:81], v[60:61], s[18:19], v[62:63]
	v_fma_f64 v[62:63], v[60:61], s[18:19], -v[62:63]
	v_fma_f64 v[135:136], v[60:61], s[14:15], v[64:65]
	v_fma_f64 v[60:61], v[60:61], s[14:15], -v[64:65]
	v_mul_f64 v[64:65], v[76:77], s[8:9]
	v_add_f64 v[66:67], v[154:155], v[66:67]
	v_fma_f64 v[154:155], v[109:110], s[4:5], v[164:165]
	v_add_f64 v[137:138], v[156:157], v[137:138]
	v_fma_f64 v[156:157], v[113:114], s[42:43], v[166:167]
	v_mul_f64 v[172:173], v[107:108], s[28:29]
	v_mul_f64 v[174:175], v[103:104], s[18:19]
	s_mov_b32 s41, 0x3fe5384d
	s_mov_b32 s40, s28
	v_fma_f64 v[82:83], v[78:79], s[22:23], v[82:83]
	v_mul_f64 v[139:140], v[76:77], s[6:7]
	v_fma_f64 v[150:151], v[78:79], s[44:45], v[64:65]
	v_mul_f64 v[152:153], v[76:77], s[4:5]
	v_mul_f64 v[168:169], v[76:77], s[18:19]
	;; [unrolled: 1-line block ×3, first 2 shown]
	v_add_f64 v[66:67], v[154:155], v[66:67]
	v_add_f64 v[137:138], v[156:157], v[137:138]
	v_fma_f64 v[154:155], v[101:102], s[18:19], v[172:173]
	v_fma_f64 v[156:157], v[105:106], s[40:41], v[174:175]
	v_add_f64 v[72:73], v[52:53], v[72:73]
	v_fma_f64 v[141:142], v[125:126], s[8:9], -v[141:142]
	s_mov_b32 s47, 0x3fcea1e5
	s_mov_b32 s46, s30
	v_fma_f64 v[64:65], v[78:79], s[24:25], v[64:65]
	v_fma_f64 v[162:163], v[78:79], s[38:39], v[139:140]
	;; [unrolled: 1-line block ×9, first 2 shown]
	v_add_f64 v[66:67], v[154:155], v[66:67]
	v_add_f64 v[78:79], v[156:157], v[137:138]
	v_add_f64 v[72:73], v[141:142], v[72:73]
	v_add_f64 v[82:83], v[54:55], v[82:83]
	v_add_f64 v[137:138], v[54:55], v[150:151]
	v_add_f64 v[150:151], v[52:53], v[68:69]
	v_fma_f64 v[68:69], v[129:130], s[24:25], v[148:149]
	v_add_f64 v[154:155], v[52:53], v[70:71]
	v_fma_f64 v[70:71], v[117:118], s[6:7], -v[158:159]
	v_add_f64 v[158:159], v[52:53], v[62:63]
	v_add_f64 v[74:75], v[52:53], v[74:75]
	;; [unrolled: 1-line block ×6, first 2 shown]
	v_fma_f64 v[82:83], v[121:122], s[20:21], v[160:161]
	v_add_f64 v[70:71], v[70:71], v[72:73]
	v_mul_f64 v[72:73], v[131:132], s[26:27]
	v_fma_f64 v[160:161], v[109:110], s[4:5], -v[164:165]
	v_mul_f64 v[164:165], v[127:128], s[4:5]
	v_add_f64 v[148:149], v[54:55], v[170:171]
	v_add_f64 v[80:81], v[52:53], v[80:81]
	;; [unrolled: 1-line block ×6, first 2 shown]
	v_fma_f64 v[52:53], v[125:126], s[4:5], v[72:73]
	v_mul_f64 v[60:61], v[123:124], s[30:31]
	v_add_f64 v[62:63], v[82:83], v[62:63]
	v_fma_f64 v[82:83], v[129:130], s[42:43], v[164:165]
	v_mul_f64 v[178:179], v[119:120], s[14:15]
	v_add_f64 v[141:142], v[54:55], v[162:163]
	v_mul_f64 v[68:69], v[99:100], s[30:31]
	v_mul_f64 v[162:163], v[95:96], s[14:15]
	v_add_f64 v[52:53], v[52:53], v[74:75]
	v_fma_f64 v[74:75], v[117:118], s[14:15], v[60:61]
	v_mul_f64 v[182:183], v[115:116], s[40:41]
	v_add_f64 v[82:83], v[82:83], v[137:138]
	v_fma_f64 v[137:138], v[121:122], s[46:47], v[178:179]
	v_mul_f64 v[184:185], v[111:112], s[18:19]
	v_add_f64 v[64:65], v[54:55], v[64:65]
	v_add_f64 v[139:140], v[54:55], v[139:140]
	;; [unrolled: 1-line block ×4, first 2 shown]
	v_fma_f64 v[180:181], v[93:94], s[14:15], v[68:69]
	v_add_f64 v[70:71], v[160:161], v[70:71]
	v_fma_f64 v[160:161], v[97:98], s[46:47], v[162:163]
	v_fma_f64 v[166:167], v[113:114], s[26:27], v[166:167]
	v_add_f64 v[186:187], v[54:55], v[76:77]
	v_add_f64 v[54:55], v[74:75], v[52:53]
	v_fma_f64 v[74:75], v[109:110], s[18:19], v[182:183]
	v_mul_f64 v[76:77], v[107:108], s[38:39]
	v_add_f64 v[82:83], v[137:138], v[82:83]
	v_fma_f64 v[137:138], v[113:114], s[28:29], v[184:185]
	v_mul_f64 v[188:189], v[103:104], s[6:7]
	v_fma_f64 v[172:173], v[101:102], s[18:19], -v[172:173]
	v_add_f64 v[52:53], v[180:181], v[66:67]
	v_add_f64 v[62:63], v[166:167], v[62:63]
	v_fma_f64 v[66:67], v[105:106], s[28:29], v[174:175]
	v_add_f64 v[74:75], v[74:75], v[54:55]
	v_fma_f64 v[166:167], v[101:102], s[6:7], v[76:77]
	v_fma_f64 v[72:73], v[125:126], s[4:5], -v[72:73]
	v_add_f64 v[82:83], v[137:138], v[82:83]
	v_fma_f64 v[137:138], v[105:106], s[20:21], v[188:189]
	v_add_f64 v[54:55], v[160:161], v[78:79]
	v_fma_f64 v[78:79], v[129:130], s[26:27], v[164:165]
	v_add_f64 v[70:71], v[172:173], v[70:71]
	v_add_f64 v[62:63], v[66:67], v[62:63]
	;; [unrolled: 1-line block ×4, first 2 shown]
	v_fma_f64 v[60:61], v[117:118], s[14:15], -v[60:61]
	v_add_f64 v[74:75], v[137:138], v[82:83]
	v_fma_f64 v[68:69], v[93:94], s[14:15], -v[68:69]
	v_add_f64 v[64:65], v[78:79], v[64:65]
	v_mul_f64 v[78:79], v[131:132], s[30:31]
	v_mul_f64 v[82:83], v[127:128], s[14:15]
	;; [unrolled: 1-line block ×3, first 2 shown]
	v_fma_f64 v[137:138], v[121:122], s[30:31], v[178:179]
	v_add_f64 v[72:73], v[60:61], v[72:73]
	v_fma_f64 v[160:161], v[109:110], s[18:19], -v[182:183]
	v_mul_f64 v[164:165], v[95:96], s[16:17]
	v_mul_f64 v[174:175], v[123:124], s[42:43]
	v_fma_f64 v[166:167], v[125:126], s[14:15], v[78:79]
	v_fma_f64 v[172:173], v[129:130], s[46:47], v[82:83]
	v_add_f64 v[60:61], v[68:69], v[70:71]
	v_mul_f64 v[68:69], v[119:120], s[4:5]
	v_fma_f64 v[162:163], v[97:98], s[30:31], v[162:163]
	v_add_f64 v[70:71], v[137:138], v[64:65]
	v_fma_f64 v[64:65], v[93:94], s[16:17], v[84:85]
	v_add_f64 v[72:73], v[160:161], v[72:73]
	v_add_f64 v[86:87], v[166:167], v[86:87]
	;; [unrolled: 1-line block ×3, first 2 shown]
	v_fma_f64 v[141:142], v[117:118], s[4:5], v[174:175]
	v_mul_f64 v[160:161], v[115:116], s[36:37]
	v_fma_f64 v[166:167], v[121:122], s[26:27], v[68:69]
	v_mul_f64 v[172:173], v[111:112], s[16:17]
	v_fma_f64 v[178:179], v[97:98], s[22:23], v[164:165]
	v_fma_f64 v[76:77], v[101:102], s[6:7], -v[76:77]
	v_add_f64 v[62:63], v[162:163], v[62:63]
	v_mul_f64 v[182:183], v[103:104], s[8:9]
	v_add_f64 v[86:87], v[141:142], v[86:87]
	v_fma_f64 v[141:142], v[109:110], s[16:17], v[160:161]
	v_add_f64 v[137:138], v[166:167], v[137:138]
	v_fma_f64 v[162:163], v[113:114], s[22:23], v[172:173]
	v_mul_f64 v[166:167], v[107:108], s[24:25]
	v_add_f64 v[64:65], v[64:65], v[66:67]
	v_fma_f64 v[78:79], v[125:126], s[14:15], -v[78:79]
	v_add_f64 v[66:67], v[178:179], v[74:75]
	v_fma_f64 v[74:75], v[129:130], s[30:31], v[82:83]
	v_fma_f64 v[180:181], v[113:114], s[40:41], v[184:185]
	v_add_f64 v[86:87], v[141:142], v[86:87]
	v_add_f64 v[137:138], v[162:163], v[137:138]
	v_fma_f64 v[141:142], v[101:102], s[8:9], v[166:167]
	v_fma_f64 v[162:163], v[105:106], s[44:45], v[182:183]
	v_add_f64 v[72:73], v[76:77], v[72:73]
	v_add_f64 v[76:77], v[78:79], v[133:134]
	v_fma_f64 v[78:79], v[117:118], s[4:5], -v[174:175]
	v_fma_f64 v[84:85], v[93:94], s[16:17], -v[84:85]
	v_add_f64 v[74:75], v[74:75], v[139:140]
	v_mul_f64 v[139:140], v[131:132], s[40:41]
	v_add_f64 v[70:71], v[180:181], v[70:71]
	v_fma_f64 v[180:181], v[105:106], s[38:39], v[188:189]
	v_add_f64 v[82:83], v[141:142], v[86:87]
	v_add_f64 v[86:87], v[162:163], v[137:138]
	v_mul_f64 v[133:134], v[99:100], s[28:29]
	v_fma_f64 v[137:138], v[121:122], s[42:43], v[68:69]
	v_add_f64 v[76:77], v[78:79], v[76:77]
	v_fma_f64 v[78:79], v[109:110], s[16:17], -v[160:161]
	v_mul_f64 v[141:142], v[95:96], s[18:19]
	v_add_f64 v[68:69], v[84:85], v[72:73]
	v_mul_f64 v[84:85], v[127:128], s[18:19]
	v_fma_f64 v[72:73], v[125:126], s[18:19], v[139:140]
	v_mul_f64 v[162:163], v[123:124], s[36:37]
	v_add_f64 v[70:71], v[180:181], v[70:71]
	v_fma_f64 v[160:161], v[97:98], s[36:37], v[164:165]
	v_add_f64 v[137:138], v[137:138], v[74:75]
	v_fma_f64 v[74:75], v[93:94], s[18:19], v[133:134]
	;; [unrolled: 2-line block ×3, first 2 shown]
	v_fma_f64 v[164:165], v[113:114], s[36:37], v[172:173]
	v_fma_f64 v[172:173], v[129:130], s[28:29], v[84:85]
	v_mul_f64 v[174:175], v[119:120], s[16:17]
	v_add_f64 v[150:151], v[72:73], v[150:151]
	v_fma_f64 v[178:179], v[117:118], s[16:17], v[162:163]
	v_mul_f64 v[180:181], v[115:116], s[20:21]
	v_add_f64 v[70:71], v[160:161], v[70:71]
	v_add_f64 v[72:73], v[74:75], v[82:83]
	;; [unrolled: 1-line block ×4, first 2 shown]
	v_fma_f64 v[82:83], v[121:122], s[22:23], v[174:175]
	v_fma_f64 v[139:140], v[125:126], s[18:19], -v[139:140]
	v_add_f64 v[86:87], v[178:179], v[150:151]
	v_fma_f64 v[148:149], v[109:110], s[6:7], v[180:181]
	v_mul_f64 v[150:151], v[111:112], s[6:7]
	v_mul_f64 v[160:161], v[107:108], s[46:47]
	v_fma_f64 v[84:85], v[129:130], s[40:41], v[84:85]
	v_fma_f64 v[166:167], v[101:102], s[8:9], -v[166:167]
	v_add_f64 v[137:138], v[164:165], v[137:138]
	v_fma_f64 v[164:165], v[105:106], s[24:25], v[182:183]
	v_add_f64 v[78:79], v[82:83], v[78:79]
	v_add_f64 v[82:83], v[148:149], v[86:87]
	v_fma_f64 v[86:87], v[113:114], s[38:39], v[150:151]
	v_add_f64 v[139:140], v[139:140], v[154:155]
	v_fma_f64 v[148:149], v[101:102], s[14:15], v[160:161]
	v_mul_f64 v[154:155], v[103:104], s[14:15]
	v_fma_f64 v[162:163], v[117:118], s[16:17], -v[162:163]
	v_add_f64 v[84:85], v[84:85], v[152:153]
	v_fma_f64 v[152:153], v[121:122], s[36:37], v[174:175]
	v_add_f64 v[76:77], v[166:167], v[76:77]
	v_add_f64 v[137:138], v[164:165], v[137:138]
	;; [unrolled: 1-line block ×4, first 2 shown]
	v_fma_f64 v[86:87], v[105:106], s[30:31], v[154:155]
	v_add_f64 v[139:140], v[162:163], v[139:140]
	v_mul_f64 v[148:149], v[99:100], s[44:45]
	v_add_f64 v[84:85], v[152:153], v[84:85]
	v_fma_f64 v[152:153], v[109:110], s[6:7], -v[180:181]
	v_mul_f64 v[162:163], v[95:96], s[8:9]
	v_fma_f64 v[150:151], v[113:114], s[20:21], v[150:151]
	v_fma_f64 v[133:134], v[93:94], s[18:19], -v[133:134]
	v_mul_f64 v[164:165], v[131:132], s[38:39]
	v_fma_f64 v[141:142], v[97:98], s[28:29], v[141:142]
	v_mul_f64 v[172:173], v[127:128], s[6:7]
	v_add_f64 v[86:87], v[86:87], v[78:79]
	v_fma_f64 v[166:167], v[93:94], s[8:9], v[148:149]
	v_add_f64 v[139:140], v[152:153], v[139:140]
	v_fma_f64 v[152:153], v[97:98], s[24:25], v[162:163]
	;; [unrolled: 2-line block ×3, first 2 shown]
	v_fma_f64 v[160:161], v[101:102], s[14:15], -v[160:161]
	v_add_f64 v[76:77], v[133:134], v[76:77]
	v_add_f64 v[78:79], v[141:142], v[137:138]
	v_fma_f64 v[133:134], v[129:130], s[20:21], v[172:173]
	v_mul_f64 v[137:138], v[119:120], s[8:9]
	v_fma_f64 v[154:155], v[105:106], s[46:47], v[154:155]
	v_mul_f64 v[174:175], v[123:124], s[24:25]
	v_add_f64 v[141:142], v[150:151], v[80:81]
	v_add_f64 v[80:81], v[166:167], v[82:83]
	;; [unrolled: 1-line block ×5, first 2 shown]
	v_fma_f64 v[139:140], v[121:122], s[44:45], v[137:138]
	v_add_f64 v[154:155], v[154:155], v[84:85]
	v_fma_f64 v[84:85], v[93:94], s[8:9], -v[148:149]
	v_fma_f64 v[148:149], v[97:98], s[44:45], v[162:163]
	v_fma_f64 v[150:151], v[117:118], s[8:9], v[174:175]
	v_mul_f64 v[178:179], v[115:116], s[46:47]
	v_mul_f64 v[152:153], v[111:112], s[14:15]
	;; [unrolled: 1-line block ×3, first 2 shown]
	v_add_f64 v[133:134], v[139:140], v[133:134]
	v_fma_f64 v[139:140], v[125:126], s[6:7], -v[164:165]
	v_add_f64 v[84:85], v[84:85], v[86:87]
	v_fma_f64 v[164:165], v[129:130], s[38:39], v[172:173]
	v_add_f64 v[86:87], v[148:149], v[154:155]
	v_fma_f64 v[148:149], v[117:118], s[8:9], -v[174:175]
	v_add_f64 v[141:142], v[150:151], v[141:142]
	v_fma_f64 v[150:151], v[109:110], s[14:15], v[178:179]
	v_fma_f64 v[137:138], v[121:122], s[24:25], v[137:138]
	v_add_f64 v[139:140], v[139:140], v[158:159]
	v_mul_f64 v[131:132], v[131:132], s[36:37]
	v_add_f64 v[158:159], v[164:165], v[168:169]
	v_mul_f64 v[127:128], v[127:128], s[16:17]
	v_fma_f64 v[160:161], v[113:114], s[30:31], v[152:153]
	v_mul_f64 v[162:163], v[103:104], s[16:17]
	v_add_f64 v[141:142], v[150:151], v[141:142]
	v_fma_f64 v[150:151], v[101:102], s[16:17], v[156:157]
	v_add_f64 v[139:140], v[148:149], v[139:140]
	v_fma_f64 v[148:149], v[109:110], s[14:15], -v[178:179]
	v_add_f64 v[137:138], v[137:138], v[158:159]
	v_fma_f64 v[152:153], v[113:114], s[46:47], v[152:153]
	v_fma_f64 v[164:165], v[125:126], s[16:17], v[131:132]
	v_mul_f64 v[123:124], v[123:124], s[28:29]
	v_mul_f64 v[119:120], v[119:120], s[18:19]
	v_fma_f64 v[125:126], v[125:126], s[16:17], -v[131:132]
	v_add_f64 v[141:142], v[150:151], v[141:142]
	v_add_f64 v[139:140], v[148:149], v[139:140]
	v_fma_f64 v[148:149], v[101:102], s[16:17], -v[156:157]
	v_fma_f64 v[156:157], v[129:130], s[22:23], v[127:128]
	v_fma_f64 v[127:128], v[129:130], s[36:37], v[127:128]
	;; [unrolled: 1-line block ×3, first 2 shown]
	v_add_f64 v[137:138], v[152:153], v[137:138]
	v_fma_f64 v[152:153], v[105:106], s[36:37], v[162:163]
	v_add_f64 v[135:136], v[164:165], v[135:136]
	v_fma_f64 v[131:132], v[117:118], s[18:19], v[123:124]
	v_mul_f64 v[115:116], v[115:116], s[44:45]
	v_add_f64 v[156:157], v[156:157], v[170:171]
	v_fma_f64 v[162:163], v[121:122], s[40:41], v[119:120]
	v_mul_f64 v[111:112], v[111:112], s[8:9]
	v_add_f64 v[125:126], v[125:126], v[176:177]
	v_fma_f64 v[117:118], v[117:118], s[18:19], -v[123:124]
	v_add_f64 v[127:128], v[127:128], v[186:187]
	v_fma_f64 v[119:120], v[121:122], s[28:29], v[119:120]
	v_add_f64 v[123:124], v[131:132], v[135:136]
	v_fma_f64 v[131:132], v[109:110], s[8:9], v[115:116]
	v_add_f64 v[135:136], v[162:163], v[156:157]
	v_mul_f64 v[107:108], v[107:108], s[26:27]
	v_fma_f64 v[121:122], v[113:114], s[24:25], v[111:112]
	v_mul_f64 v[103:104], v[103:104], s[4:5]
	v_add_f64 v[117:118], v[117:118], v[125:126]
	v_fma_f64 v[109:110], v[109:110], s[8:9], -v[115:116]
	v_add_f64 v[119:120], v[119:120], v[127:128]
	v_fma_f64 v[111:112], v[113:114], s[44:45], v[111:112]
	v_add_f64 v[133:134], v[160:161], v[133:134]
	v_mul_f64 v[154:155], v[99:100], s[26:27]
	v_mul_f64 v[160:161], v[95:96], s[4:5]
	v_add_f64 v[123:124], v[131:132], v[123:124]
	v_fma_f64 v[113:114], v[101:102], s[4:5], v[107:108]
	v_add_f64 v[121:122], v[121:122], v[135:136]
	v_fma_f64 v[101:102], v[101:102], s[4:5], -v[107:108]
	v_fma_f64 v[107:108], v[105:106], s[42:43], v[103:104]
	v_mul_f64 v[99:100], v[99:100], s[38:39]
	v_mul_f64 v[95:96], v[95:96], s[6:7]
	v_add_f64 v[109:110], v[109:110], v[117:118]
	v_add_f64 v[111:112], v[111:112], v[119:120]
	v_fma_f64 v[103:104], v[105:106], s[26:27], v[103:104]
	v_add_f64 v[133:134], v[150:151], v[133:134]
	v_fma_f64 v[150:151], v[93:94], s[4:5], v[154:155]
	v_fma_f64 v[158:159], v[97:98], s[42:43], v[160:161]
	v_add_f64 v[105:106], v[113:114], v[123:124]
	v_add_f64 v[107:108], v[107:108], v[121:122]
	v_fma_f64 v[119:120], v[93:94], s[6:7], v[99:100]
	v_fma_f64 v[121:122], v[97:98], s[20:21], v[95:96]
	v_add_f64 v[109:110], v[101:102], v[109:110]
	v_add_f64 v[111:112], v[103:104], v[111:112]
	v_fma_f64 v[123:124], v[93:94], s[6:7], -v[99:100]
	v_fma_f64 v[125:126], v[97:98], s[38:39], v[95:96]
	v_add_f64 v[129:130], v[148:149], v[139:140]
	v_add_f64 v[115:116], v[152:153], v[137:138]
	v_fma_f64 v[113:114], v[93:94], s[4:5], -v[154:155]
	v_fma_f64 v[117:118], v[97:98], s[26:27], v[160:161]
	ds_read_b128 v[12:15], v144 offset:4240
	v_add_f64 v[93:94], v[150:151], v[141:142]
	v_add_f64 v[95:96], v[158:159], v[133:134]
	;; [unrolled: 1-line block ×4, first 2 shown]
	s_movk_i32 s33, 0xd0
	v_add_f64 v[105:106], v[123:124], v[109:110]
	v_add_f64 v[107:108], v[125:126], v[111:112]
	v_mad_u32_u24 v109, v90, s33, v143
	v_cmp_gt_u32_e32 vcc, 8, v90
	v_add_f64 v[97:98], v[113:114], v[129:130]
	v_add_f64 v[99:100], v[117:118], v[115:116]
	s_waitcnt lgkmcnt(0)
	; wave barrier
	s_waitcnt lgkmcnt(0)
	ds_write_b128 v109, v[56:59]
	ds_write_b128 v109, v[52:55] offset:16
	ds_write_b128 v109, v[64:67] offset:32
	;; [unrolled: 1-line block ×12, first 2 shown]
	s_and_saveexec_b64 s[34:35], vcc
	s_cbranch_execz .LBB0_15
; %bb.14:
	v_add_f64 v[137:138], v[44:45], -v[12:13]
	v_add_f64 v[135:136], v[48:49], -v[16:17]
	v_add_f64 v[109:110], v[46:47], v[14:15]
	v_add_f64 v[121:122], v[46:47], -v[14:15]
	v_add_f64 v[133:134], v[40:41], -v[8:9]
	v_add_f64 v[103:104], v[50:51], v[18:19]
	v_add_f64 v[125:126], v[50:51], -v[18:19]
	v_add_f64 v[115:116], v[44:45], v[12:13]
	v_mul_f64 v[52:53], v[137:138], s[30:31]
	v_mul_f64 v[54:55], v[135:136], s[36:37]
	v_add_f64 v[131:132], v[36:37], -v[4:5]
	v_mul_f64 v[60:61], v[121:122], s[30:31]
	v_add_f64 v[99:100], v[42:43], v[10:11]
	v_mul_f64 v[58:59], v[133:134], s[28:29]
	v_add_f64 v[117:118], v[42:43], -v[10:11]
	v_add_f64 v[113:114], v[48:49], v[16:17]
	v_fma_f64 v[56:57], v[109:110], s[14:15], v[52:53]
	v_fma_f64 v[62:63], v[103:104], s[16:17], v[54:55]
	v_mul_f64 v[66:67], v[125:126], s[36:37]
	v_fma_f64 v[70:71], v[115:116], s[14:15], -v[60:61]
	v_fma_f64 v[52:53], v[109:110], s[14:15], -v[52:53]
	v_add_f64 v[129:130], v[32:33], -v[20:21]
	v_add_f64 v[95:96], v[38:39], v[6:7]
	v_add_f64 v[127:128], v[38:39], -v[6:7]
	v_add_f64 v[56:57], v[2:3], v[56:57]
	v_mul_f64 v[64:65], v[131:132], s[44:45]
	v_fma_f64 v[68:69], v[99:100], s[18:19], v[58:59]
	v_add_f64 v[101:102], v[40:41], v[8:9]
	v_mul_f64 v[72:73], v[117:118], s[28:29]
	v_fma_f64 v[76:77], v[113:114], s[16:17], -v[66:67]
	v_add_f64 v[70:71], v[0:1], v[70:71]
	v_fma_f64 v[54:55], v[103:104], s[16:17], -v[54:55]
	v_add_f64 v[56:57], v[62:63], v[56:57]
	v_add_f64 v[52:53], v[2:3], v[52:53]
	;; [unrolled: 1-line block ×3, first 2 shown]
	v_add_f64 v[123:124], v[34:35], -v[22:23]
	v_add_f64 v[97:98], v[36:37], v[4:5]
	v_mul_f64 v[62:63], v[129:130], s[26:27]
	v_fma_f64 v[74:75], v[95:96], s[8:9], v[64:65]
	v_mul_f64 v[78:79], v[127:128], s[44:45]
	v_add_f64 v[56:57], v[68:69], v[56:57]
	v_fma_f64 v[84:85], v[101:102], s[18:19], -v[72:73]
	v_add_f64 v[70:71], v[76:77], v[70:71]
	v_fma_f64 v[58:59], v[99:100], s[18:19], -v[58:59]
	v_add_f64 v[52:53], v[54:55], v[52:53]
	v_add_f64 v[119:120], v[28:29], -v[24:25]
	v_fma_f64 v[82:83], v[93:94], s[4:5], v[62:63]
	v_add_f64 v[105:106], v[32:33], v[20:21]
	v_add_f64 v[56:57], v[74:75], v[56:57]
	v_mul_f64 v[74:75], v[123:124], s[26:27]
	v_fma_f64 v[76:77], v[97:98], s[8:9], -v[78:79]
	v_add_f64 v[70:71], v[84:85], v[70:71]
	v_fma_f64 v[64:65], v[95:96], s[8:9], -v[64:65]
	v_add_f64 v[52:53], v[58:59], v[52:53]
	v_add_f64 v[80:81], v[30:31], v[26:27]
	v_add_f64 v[111:112], v[30:31], -v[26:27]
	v_mul_f64 v[68:69], v[119:120], s[38:39]
	v_add_f64 v[56:57], v[82:83], v[56:57]
	v_fma_f64 v[82:83], v[105:106], s[4:5], -v[74:75]
	v_fma_f64 v[60:61], v[115:116], s[14:15], v[60:61]
	v_add_f64 v[70:71], v[76:77], v[70:71]
	v_fma_f64 v[62:63], v[93:94], s[4:5], -v[62:63]
	v_add_f64 v[52:53], v[64:65], v[52:53]
	v_fma_f64 v[64:65], v[113:114], s[16:17], v[66:67]
	v_mul_f64 v[66:67], v[137:138], s[28:29]
	v_fma_f64 v[54:55], v[80:81], s[6:7], v[68:69]
	v_add_f64 v[107:108], v[28:29], v[24:25]
	v_mul_f64 v[58:59], v[111:112], s[38:39]
	v_add_f64 v[60:61], v[0:1], v[60:61]
	v_add_f64 v[70:71], v[82:83], v[70:71]
	;; [unrolled: 1-line block ×3, first 2 shown]
	v_mul_f64 v[76:77], v[121:122], s[28:29]
	v_fma_f64 v[52:53], v[101:102], s[18:19], v[72:73]
	v_mul_f64 v[72:73], v[135:136], s[38:39]
	v_fma_f64 v[82:83], v[109:110], s[18:19], v[66:67]
	v_add_f64 v[54:55], v[54:55], v[56:57]
	v_fma_f64 v[56:57], v[107:108], s[6:7], -v[58:59]
	v_add_f64 v[60:61], v[64:65], v[60:61]
	v_fma_f64 v[64:65], v[107:108], s[6:7], v[58:59]
	v_fma_f64 v[58:59], v[97:98], s[8:9], v[78:79]
	v_mul_f64 v[78:79], v[125:126], s[38:39]
	v_fma_f64 v[84:85], v[115:116], s[18:19], -v[76:77]
	v_mul_f64 v[86:87], v[133:134], s[24:25]
	v_fma_f64 v[139:140], v[103:104], s[6:7], v[72:73]
	v_add_f64 v[82:83], v[2:3], v[82:83]
	v_add_f64 v[52:53], v[52:53], v[60:61]
	v_fma_f64 v[60:61], v[105:106], s[4:5], v[74:75]
	v_mul_f64 v[74:75], v[117:118], s[24:25]
	v_fma_f64 v[141:142], v[113:114], s[6:7], -v[78:79]
	v_add_f64 v[84:85], v[0:1], v[84:85]
	v_mul_f64 v[148:149], v[131:132], s[46:47]
	v_fma_f64 v[150:151], v[99:100], s[8:9], v[86:87]
	v_add_f64 v[82:83], v[139:140], v[82:83]
	v_fma_f64 v[66:67], v[109:110], s[18:19], -v[66:67]
	v_add_f64 v[52:53], v[58:59], v[52:53]
	v_mul_f64 v[139:140], v[127:128], s[46:47]
	v_fma_f64 v[58:59], v[101:102], s[8:9], -v[74:75]
	v_add_f64 v[84:85], v[141:142], v[84:85]
	v_mul_f64 v[141:142], v[129:130], s[36:37]
	v_fma_f64 v[152:153], v[95:96], s[14:15], v[148:149]
	v_add_f64 v[82:83], v[150:151], v[82:83]
	v_fma_f64 v[72:73], v[103:104], s[6:7], -v[72:73]
	v_add_f64 v[66:67], v[2:3], v[66:67]
	;; [unrolled: 8-line block ×3, first 2 shown]
	v_fma_f64 v[68:69], v[80:81], s[6:7], -v[68:69]
	v_mul_f64 v[152:153], v[111:112], s[26:27]
	v_fma_f64 v[158:159], v[105:106], s[16:17], -v[150:151]
	v_add_f64 v[58:59], v[154:155], v[58:59]
	v_add_f64 v[60:61], v[60:61], v[52:53]
	v_fma_f64 v[72:73], v[80:81], s[4:5], v[84:85]
	v_add_f64 v[82:83], v[156:157], v[82:83]
	v_fma_f64 v[148:149], v[95:96], s[14:15], -v[148:149]
	v_add_f64 v[66:67], v[86:87], v[66:67]
	v_add_f64 v[52:53], v[56:57], v[70:71]
	v_fma_f64 v[70:71], v[107:108], s[4:5], -v[152:153]
	v_add_f64 v[86:87], v[158:159], v[58:59]
	v_add_f64 v[58:59], v[68:69], v[62:63]
	;; [unrolled: 1-line block ×4, first 2 shown]
	v_fma_f64 v[64:65], v[93:94], s[16:17], -v[141:142]
	v_mul_f64 v[68:69], v[137:138], s[26:27]
	v_fma_f64 v[72:73], v[115:116], s[18:19], v[76:77]
	v_add_f64 v[66:67], v[148:149], v[66:67]
	v_mul_f64 v[76:77], v[121:122], s[26:27]
	v_add_f64 v[60:61], v[70:71], v[86:87]
	v_fma_f64 v[70:71], v[80:81], s[4:5], -v[84:85]
	v_fma_f64 v[78:79], v[113:114], s[6:7], v[78:79]
	v_mul_f64 v[82:83], v[135:136], s[40:41]
	v_fma_f64 v[84:85], v[109:110], s[4:5], v[68:69]
	v_add_f64 v[72:73], v[0:1], v[72:73]
	v_add_f64 v[64:65], v[64:65], v[66:67]
	v_fma_f64 v[66:67], v[101:102], s[8:9], v[74:75]
	v_mul_f64 v[74:75], v[125:126], s[40:41]
	v_fma_f64 v[86:87], v[115:116], s[4:5], -v[76:77]
	v_mul_f64 v[141:142], v[133:134], s[36:37]
	v_fma_f64 v[148:149], v[103:104], s[18:19], v[82:83]
	v_add_f64 v[84:85], v[2:3], v[84:85]
	v_add_f64 v[72:73], v[78:79], v[72:73]
	v_fma_f64 v[78:79], v[97:98], s[14:15], v[139:140]
	v_mul_f64 v[139:140], v[117:118], s[36:37]
	v_fma_f64 v[154:155], v[113:114], s[18:19], -v[74:75]
	v_add_f64 v[86:87], v[0:1], v[86:87]
	v_mul_f64 v[156:157], v[131:132], s[20:21]
	v_fma_f64 v[158:159], v[99:100], s[16:17], v[141:142]
	v_add_f64 v[84:85], v[148:149], v[84:85]
	v_add_f64 v[66:67], v[66:67], v[72:73]
	v_fma_f64 v[72:73], v[105:106], s[16:17], v[150:151]
	v_mul_f64 v[148:149], v[127:128], s[20:21]
	v_fma_f64 v[150:151], v[101:102], s[16:17], -v[139:140]
	v_add_f64 v[86:87], v[154:155], v[86:87]
	v_mul_f64 v[154:155], v[129:130], s[46:47]
	v_fma_f64 v[160:161], v[95:96], s[6:7], v[156:157]
	v_add_f64 v[84:85], v[158:159], v[84:85]
	v_add_f64 v[66:67], v[78:79], v[66:67]
	v_mul_f64 v[78:79], v[123:124], s[46:47]
	v_fma_f64 v[68:69], v[109:110], s[4:5], -v[68:69]
	v_fma_f64 v[158:159], v[97:98], s[6:7], -v[148:149]
	v_add_f64 v[86:87], v[150:151], v[86:87]
	v_mul_f64 v[150:151], v[119:120], s[44:45]
	v_fma_f64 v[162:163], v[93:94], s[14:15], v[154:155]
	v_add_f64 v[84:85], v[160:161], v[84:85]
	v_mul_f64 v[160:161], v[111:112], s[44:45]
	v_fma_f64 v[82:83], v[103:104], s[18:19], -v[82:83]
	v_add_f64 v[68:69], v[2:3], v[68:69]
	v_fma_f64 v[164:165], v[105:106], s[14:15], -v[78:79]
	v_add_f64 v[86:87], v[158:159], v[86:87]
	v_fma_f64 v[152:153], v[107:108], s[4:5], v[152:153]
	v_add_f64 v[66:67], v[72:73], v[66:67]
	v_fma_f64 v[72:73], v[80:81], s[8:9], v[150:151]
	v_add_f64 v[84:85], v[162:163], v[84:85]
	v_fma_f64 v[141:142], v[99:100], s[16:17], -v[141:142]
	v_add_f64 v[82:83], v[82:83], v[68:69]
	v_fma_f64 v[158:159], v[107:108], s[8:9], -v[160:161]
	v_add_f64 v[86:87], v[164:165], v[86:87]
	v_fma_f64 v[76:77], v[115:116], s[4:5], v[76:77]
	v_add_f64 v[68:69], v[152:153], v[66:67]
	v_mul_f64 v[152:153], v[137:138], s[20:21]
	v_add_f64 v[70:71], v[70:71], v[64:65]
	v_fma_f64 v[156:157], v[95:96], s[6:7], -v[156:157]
	v_add_f64 v[82:83], v[141:142], v[82:83]
	v_add_f64 v[66:67], v[72:73], v[84:85]
	;; [unrolled: 1-line block ×3, first 2 shown]
	v_fma_f64 v[72:73], v[93:94], s[14:15], -v[154:155]
	v_mul_f64 v[84:85], v[135:136], s[30:31]
	v_fma_f64 v[86:87], v[109:110], s[6:7], v[152:153]
	v_fma_f64 v[74:75], v[113:114], s[18:19], v[74:75]
	v_add_f64 v[76:77], v[0:1], v[76:77]
	v_mul_f64 v[154:155], v[121:122], s[20:21]
	v_add_f64 v[82:83], v[156:157], v[82:83]
	v_fma_f64 v[141:142], v[80:81], s[8:9], -v[150:151]
	v_mul_f64 v[150:151], v[133:134], s[42:43]
	v_fma_f64 v[156:157], v[103:104], s[14:15], v[84:85]
	v_add_f64 v[86:87], v[2:3], v[86:87]
	v_fma_f64 v[139:140], v[101:102], s[16:17], v[139:140]
	v_add_f64 v[74:75], v[74:75], v[76:77]
	v_mul_f64 v[158:159], v[125:126], s[30:31]
	v_fma_f64 v[76:77], v[115:116], s[6:7], -v[154:155]
	v_add_f64 v[72:73], v[72:73], v[82:83]
	v_mul_f64 v[82:83], v[131:132], s[36:37]
	v_fma_f64 v[162:163], v[99:100], s[4:5], v[150:151]
	v_add_f64 v[86:87], v[156:157], v[86:87]
	v_fma_f64 v[148:149], v[97:98], s[6:7], v[148:149]
	v_add_f64 v[74:75], v[139:140], v[74:75]
	v_mul_f64 v[156:157], v[117:118], s[42:43]
	v_fma_f64 v[164:165], v[113:114], s[14:15], -v[158:159]
	v_add_f64 v[76:77], v[0:1], v[76:77]
	v_fma_f64 v[166:167], v[95:96], s[16:17], v[82:83]
	v_fma_f64 v[78:79], v[105:106], s[14:15], v[78:79]
	v_add_f64 v[86:87], v[162:163], v[86:87]
	v_mul_f64 v[162:163], v[127:128], s[36:37]
	v_add_f64 v[74:75], v[148:149], v[74:75]
	v_fma_f64 v[168:169], v[101:102], s[4:5], -v[156:157]
	v_mul_f64 v[139:140], v[129:130], s[24:25]
	v_add_f64 v[76:77], v[164:165], v[76:77]
	v_fma_f64 v[160:161], v[107:108], s[8:9], v[160:161]
	v_fma_f64 v[152:153], v[109:110], s[6:7], -v[152:153]
	v_add_f64 v[86:87], v[166:167], v[86:87]
	v_mul_f64 v[166:167], v[123:124], s[24:25]
	v_add_f64 v[74:75], v[78:79], v[74:75]
	v_fma_f64 v[170:171], v[97:98], s[16:17], -v[162:163]
	v_mul_f64 v[148:149], v[119:120], s[28:29]
	v_add_f64 v[76:77], v[168:169], v[76:77]
	v_fma_f64 v[164:165], v[93:94], s[8:9], v[139:140]
	v_add_f64 v[78:79], v[141:142], v[72:73]
	v_fma_f64 v[84:85], v[103:104], s[14:15], -v[84:85]
	v_fma_f64 v[72:73], v[105:106], s[8:9], -v[166:167]
	v_add_f64 v[141:142], v[2:3], v[152:153]
	v_fma_f64 v[150:151], v[99:100], s[4:5], -v[150:151]
	v_fma_f64 v[168:169], v[80:81], s[18:19], v[148:149]
	v_add_f64 v[152:153], v[170:171], v[76:77]
	v_add_f64 v[76:77], v[160:161], v[74:75]
	v_mul_f64 v[160:161], v[137:138], s[24:25]
	v_add_f64 v[86:87], v[164:165], v[86:87]
	v_fma_f64 v[154:155], v[115:116], s[6:7], v[154:155]
	v_add_f64 v[84:85], v[84:85], v[141:142]
	v_fma_f64 v[141:142], v[80:81], s[18:19], -v[148:149]
	v_mul_f64 v[148:149], v[135:136], s[26:27]
	v_add_f64 v[72:73], v[72:73], v[152:153]
	v_fma_f64 v[82:83], v[95:96], s[16:17], -v[82:83]
	v_fma_f64 v[152:153], v[109:110], s[8:9], v[160:161]
	v_add_f64 v[74:75], v[168:169], v[86:87]
	v_fma_f64 v[158:159], v[113:114], s[14:15], v[158:159]
	v_add_f64 v[154:155], v[0:1], v[154:155]
	v_add_f64 v[84:85], v[150:151], v[84:85]
	v_mul_f64 v[150:151], v[121:122], s[24:25]
	v_mul_f64 v[168:169], v[133:134], s[30:31]
	v_fma_f64 v[170:171], v[103:104], s[4:5], v[148:149]
	v_add_f64 v[152:153], v[2:3], v[152:153]
	v_add_f64 v[46:47], v[2:3], v[46:47]
	v_add_f64 v[44:45], v[0:1], v[44:45]
	v_fma_f64 v[156:157], v[101:102], s[4:5], v[156:157]
	v_add_f64 v[154:155], v[158:159], v[154:155]
	v_add_f64 v[82:83], v[82:83], v[84:85]
	v_mul_f64 v[158:159], v[125:126], s[26:27]
	v_fma_f64 v[84:85], v[115:116], s[8:9], -v[150:151]
	v_mul_f64 v[172:173], v[131:132], s[40:41]
	v_fma_f64 v[174:175], v[99:100], s[14:15], v[168:169]
	v_add_f64 v[152:153], v[170:171], v[152:153]
	v_add_f64 v[46:47], v[46:47], v[50:51]
	v_add_f64 v[44:45], v[44:45], v[48:49]
	v_fma_f64 v[162:163], v[97:98], s[16:17], v[162:163]
	v_add_f64 v[154:155], v[156:157], v[154:155]
	v_fma_f64 v[170:171], v[113:114], s[4:5], -v[158:159]
	v_add_f64 v[84:85], v[0:1], v[84:85]
	v_mul_f64 v[176:177], v[129:130], s[38:39]
	v_fma_f64 v[178:179], v[95:96], s[18:19], v[172:173]
	v_add_f64 v[152:153], v[174:175], v[152:153]
	v_add_f64 v[42:43], v[46:47], v[42:43]
	;; [unrolled: 1-line block ×3, first 2 shown]
	v_mul_f64 v[164:165], v[111:112], s[28:29]
	v_fma_f64 v[139:140], v[93:94], s[8:9], -v[139:140]
	v_fma_f64 v[166:167], v[105:106], s[8:9], v[166:167]
	v_add_f64 v[154:155], v[162:163], v[154:155]
	v_add_f64 v[84:85], v[170:171], v[84:85]
	v_mul_f64 v[170:171], v[119:120], s[36:37]
	v_fma_f64 v[180:181], v[93:94], s[6:7], v[176:177]
	v_add_f64 v[152:153], v[178:179], v[152:153]
	v_add_f64 v[38:39], v[42:43], v[38:39]
	;; [unrolled: 1-line block ×3, first 2 shown]
	v_fma_f64 v[86:87], v[107:108], s[18:19], -v[164:165]
	v_mul_f64 v[156:157], v[117:118], s[30:31]
	v_add_f64 v[82:83], v[139:140], v[82:83]
	v_add_f64 v[154:155], v[166:167], v[154:155]
	v_fma_f64 v[166:167], v[80:81], s[16:17], v[170:171]
	v_add_f64 v[152:153], v[180:181], v[152:153]
	v_fma_f64 v[160:161], v[109:110], s[8:9], -v[160:161]
	v_add_f64 v[34:35], v[38:39], v[34:35]
	v_add_f64 v[32:33], v[40:41], v[32:33]
	v_fma_f64 v[174:175], v[101:102], s[14:15], -v[156:157]
	v_add_f64 v[72:73], v[86:87], v[72:73]
	;; [unrolled: 3-line block ×3, first 2 shown]
	v_add_f64 v[152:153], v[2:3], v[160:161]
	v_fma_f64 v[150:151], v[115:116], s[8:9], v[150:151]
	v_mul_f64 v[137:138], v[137:138], s[22:23]
	v_mul_f64 v[38:39], v[121:122], s[22:23]
	v_add_f64 v[30:31], v[34:35], v[30:31]
	v_add_f64 v[28:29], v[32:33], v[28:29]
	v_fma_f64 v[139:140], v[107:108], s[18:19], v[164:165]
	v_mul_f64 v[164:165], v[123:124], s[38:39]
	v_add_f64 v[84:85], v[174:175], v[84:85]
	v_mul_f64 v[174:175], v[111:112], s[36:37]
	v_fma_f64 v[166:167], v[99:100], s[14:15], -v[168:169]
	v_add_f64 v[148:149], v[148:149], v[152:153]
	v_fma_f64 v[152:153], v[113:114], s[4:5], v[158:159]
	v_add_f64 v[150:151], v[0:1], v[150:151]
	v_mul_f64 v[135:136], v[135:136], s[24:25]
	v_fma_f64 v[168:169], v[109:110], s[16:17], v[137:138]
	v_mul_f64 v[40:41], v[111:112], s[30:31]
	v_mul_f64 v[111:112], v[123:124], s[28:29]
	v_fma_f64 v[109:110], v[109:110], s[16:17], -v[137:138]
	v_mul_f64 v[123:124], v[125:126], s[24:25]
	v_fma_f64 v[32:33], v[115:116], s[16:17], v[38:39]
	v_fma_f64 v[38:39], v[115:116], s[16:17], -v[38:39]
	v_add_f64 v[26:27], v[30:31], v[26:27]
	v_add_f64 v[24:25], v[28:29], v[24:25]
	v_mul_f64 v[162:163], v[127:128], s[40:41]
	v_fma_f64 v[158:159], v[95:96], s[18:19], -v[172:173]
	v_add_f64 v[148:149], v[166:167], v[148:149]
	v_fma_f64 v[156:157], v[101:102], s[14:15], v[156:157]
	v_add_f64 v[150:151], v[152:153], v[150:151]
	v_mul_f64 v[133:134], v[133:134], s[20:21]
	v_fma_f64 v[152:153], v[103:104], s[8:9], v[135:136]
	v_add_f64 v[166:167], v[2:3], v[168:169]
	v_mul_f64 v[34:35], v[117:118], s[20:21]
	v_fma_f64 v[103:104], v[103:104], s[8:9], -v[135:136]
	v_add_f64 v[2:3], v[2:3], v[109:110]
	v_fma_f64 v[109:110], v[113:114], s[8:9], v[123:124]
	v_add_f64 v[28:29], v[0:1], v[32:33]
	v_fma_f64 v[30:31], v[113:114], s[8:9], -v[123:124]
	v_add_f64 v[0:1], v[0:1], v[38:39]
	v_add_f64 v[22:23], v[26:27], v[22:23]
	;; [unrolled: 1-line block ×3, first 2 shown]
	v_fma_f64 v[178:179], v[97:98], s[18:19], -v[162:163]
	v_fma_f64 v[160:161], v[93:94], s[6:7], -v[176:177]
	v_add_f64 v[48:49], v[158:159], v[148:149]
	v_fma_f64 v[50:51], v[97:98], s[18:19], v[162:163]
	v_add_f64 v[148:149], v[156:157], v[150:151]
	v_mul_f64 v[131:132], v[131:132], s[26:27]
	v_mul_f64 v[121:122], v[127:128], s[26:27]
	v_fma_f64 v[32:33], v[99:100], s[6:7], -v[133:134]
	v_add_f64 v[2:3], v[103:104], v[2:3]
	v_fma_f64 v[38:39], v[101:102], s[6:7], v[34:35]
	v_add_f64 v[24:25], v[109:110], v[28:29]
	v_fma_f64 v[150:151], v[99:100], s[6:7], v[133:134]
	v_add_f64 v[152:153], v[152:153], v[166:167]
	v_fma_f64 v[26:27], v[101:102], s[6:7], -v[34:35]
	v_add_f64 v[0:1], v[30:31], v[0:1]
	v_add_f64 v[6:7], v[22:23], v[6:7]
	;; [unrolled: 1-line block ×5, first 2 shown]
	v_fma_f64 v[154:155], v[80:81], s[16:17], -v[170:171]
	v_add_f64 v[44:45], v[160:161], v[48:49]
	v_fma_f64 v[46:47], v[105:106], s[6:7], v[164:165]
	v_add_f64 v[48:49], v[50:51], v[148:149]
	v_mul_f64 v[50:51], v[129:130], s[28:29]
	v_fma_f64 v[28:29], v[95:96], s[4:5], -v[131:132]
	v_add_f64 v[2:3], v[32:33], v[2:3]
	v_fma_f64 v[30:31], v[97:98], s[4:5], v[121:122]
	v_add_f64 v[20:21], v[38:39], v[24:25]
	v_fma_f64 v[129:130], v[95:96], s[4:5], v[131:132]
	v_add_f64 v[148:149], v[150:151], v[152:153]
	v_fma_f64 v[22:23], v[97:98], s[4:5], -v[121:122]
	v_add_f64 v[0:1], v[26:27], v[0:1]
	v_add_f64 v[6:7], v[6:7], v[10:11]
	;; [unrolled: 1-line block ×5, first 2 shown]
	v_mul_f64 v[46:47], v[119:120], s[30:31]
	v_fma_f64 v[24:25], v[93:94], s[18:19], -v[50:51]
	v_add_f64 v[2:3], v[28:29], v[2:3]
	v_fma_f64 v[26:27], v[105:106], s[18:19], v[111:112]
	v_add_f64 v[8:9], v[30:31], v[20:21]
	v_fma_f64 v[180:181], v[105:106], s[6:7], -v[164:165]
	v_fma_f64 v[48:49], v[93:94], s[18:19], v[50:51]
	v_add_f64 v[119:120], v[129:130], v[148:149]
	v_fma_f64 v[10:11], v[105:106], s[18:19], -v[111:112]
	v_add_f64 v[0:1], v[22:23], v[0:1]
	v_add_f64 v[6:7], v[6:7], v[18:19]
	;; [unrolled: 1-line block ×3, first 2 shown]
	v_fma_f64 v[20:21], v[80:81], s[14:15], -v[46:47]
	v_add_f64 v[2:3], v[24:25], v[2:3]
	v_fma_f64 v[22:23], v[107:108], s[14:15], v[40:41]
	v_add_f64 v[8:9], v[26:27], v[8:9]
	v_fma_f64 v[42:43], v[107:108], s[16:17], v[174:175]
	v_fma_f64 v[139:140], v[107:108], s[16:17], -v[174:175]
	v_add_f64 v[141:142], v[180:181], v[178:179]
	v_fma_f64 v[16:17], v[80:81], s[14:15], v[46:47]
	v_add_f64 v[18:19], v[48:49], v[119:120]
	v_fma_f64 v[24:25], v[107:108], s[14:15], -v[40:41]
	v_add_f64 v[26:27], v[10:11], v[0:1]
	v_add_f64 v[6:7], v[6:7], v[14:15]
	;; [unrolled: 1-line block ×6, first 2 shown]
	v_mul_i32_i24_e32 v12, 0xd0, v146
	v_add3_u32 v12, 0, v12, v147
	v_add_f64 v[80:81], v[139:140], v[141:142]
	v_add_f64 v[10:11], v[16:17], v[18:19]
	;; [unrolled: 1-line block ×3, first 2 shown]
	ds_write_b128 v12, v[4:7]
	ds_write_b128 v12, v[0:3] offset:16
	ds_write_b128 v12, v[34:37] offset:32
	;; [unrolled: 1-line block ×12, first 2 shown]
.LBB0_15:
	s_or_b64 exec, exec, s[34:35]
	v_lshlrev_b32_e32 v0, 1, v90
	v_mov_b32_e32 v1, 0
	v_lshlrev_b64 v[4:5], 4, v[0:1]
	v_add_u16_e32 v0, 26, v90
	s_movk_i32 s4, 0x4f
	v_mul_lo_u16_sdwa v2, v0, s4 dst_sel:DWORD dst_unused:UNUSED_PAD src0_sel:BYTE_0 src1_sel:DWORD
	v_lshrrev_b16_e32 v2, 10, v2
	v_mul_lo_u16_e32 v2, 13, v2
	v_mov_b32_e32 v3, s13
	v_add_co_u32_e32 v13, vcc, s12, v4
	v_sub_u16_e32 v0, v0, v2
	v_mov_b32_e32 v2, 5
	v_addc_co_u32_e32 v14, vcc, v3, v5, vcc
	v_lshlrev_b32_sdwa v4, v2, v0 dst_sel:DWORD dst_unused:UNUSED_PAD src0_sel:DWORD src1_sel:BYTE_0
	s_waitcnt lgkmcnt(0)
	; wave barrier
	s_waitcnt lgkmcnt(0)
	global_load_dwordx4 v[5:8], v[13:14], off offset:16
	global_load_dwordx4 v[9:12], v[13:14], off
	s_nop 0
	global_load_dwordx4 v[13:16], v4, s[12:13]
	global_load_dwordx4 v[17:20], v4, s[12:13] offset:16
	v_add_u16_e32 v4, 39, v90
	v_mul_lo_u16_sdwa v21, v4, s4 dst_sel:DWORD dst_unused:UNUSED_PAD src0_sel:BYTE_0 src1_sel:DWORD
	v_lshrrev_b16_e32 v21, 10, v21
	v_mul_lo_u16_e32 v21, 13, v21
	v_sub_u16_e32 v4, v4, v21
	v_lshlrev_b32_sdwa v29, v2, v4 dst_sel:DWORD dst_unused:UNUSED_PAD src0_sel:DWORD src1_sel:BYTE_0
	global_load_dwordx4 v[21:24], v29, s[12:13]
	global_load_dwordx4 v[25:28], v29, s[12:13] offset:16
	v_add_u16_e32 v29, 52, v90
	v_mul_lo_u16_sdwa v30, v29, s4 dst_sel:DWORD dst_unused:UNUSED_PAD src0_sel:BYTE_0 src1_sel:DWORD
	v_lshrrev_b16_e32 v30, 10, v30
	v_mul_lo_u16_e32 v30, 13, v30
	v_sub_u16_e32 v87, v29, v30
	v_lshlrev_b32_sdwa v37, v2, v87 dst_sel:DWORD dst_unused:UNUSED_PAD src0_sel:DWORD src1_sel:BYTE_0
	global_load_dwordx4 v[29:32], v37, s[12:13] offset:16
	global_load_dwordx4 v[33:36], v37, s[12:13]
	v_add_u16_e32 v37, 0x41, v90
	v_mul_lo_u16_sdwa v38, v37, s4 dst_sel:DWORD dst_unused:UNUSED_PAD src0_sel:BYTE_0 src1_sel:DWORD
	v_lshrrev_b16_e32 v38, 10, v38
	v_mul_lo_u16_e32 v38, 13, v38
	v_sub_u16_e32 v162, v37, v38
	v_lshlrev_b32_sdwa v45, v2, v162 dst_sel:DWORD dst_unused:UNUSED_PAD src0_sel:DWORD src1_sel:BYTE_0
	global_load_dwordx4 v[37:40], v45, s[12:13]
	global_load_dwordx4 v[41:44], v45, s[12:13] offset:16
	v_add_u16_e32 v45, 0x4e, v90
	v_mul_lo_u16_sdwa v46, v45, s4 dst_sel:DWORD dst_unused:UNUSED_PAD src0_sel:BYTE_0 src1_sel:DWORD
	v_lshrrev_b16_e32 v46, 10, v46
	v_mul_lo_u16_e32 v46, 13, v46
	v_sub_u16_e32 v163, v45, v46
	v_lshlrev_b32_sdwa v2, v2, v163 dst_sel:DWORD dst_unused:UNUSED_PAD src0_sel:DWORD src1_sel:BYTE_0
	global_load_dwordx4 v[45:48], v2, s[12:13]
	global_load_dwordx4 v[49:52], v2, s[12:13] offset:16
	ds_read_b128 v[53:56], v144 offset:1456
	ds_read_b128 v[57:60], v144 offset:1664
	ds_read_b128 v[61:64], v145
	ds_read_b128 v[65:68], v144 offset:416
	ds_read_b128 v[69:72], v144 offset:3120
	;; [unrolled: 1-line block ×17, first 2 shown]
	v_lshlrev_b32_e32 v2, 4, v146
	v_add3_u32 v2, 0, v2, v147
	ds_read_b128 v[148:151], v2
	s_mov_b32 s4, 0xe8584caa
	s_mov_b32 s5, 0xbfebb67a
	;; [unrolled: 1-line block ×4, first 2 shown]
	s_waitcnt lgkmcnt(0)
	; wave barrier
	s_waitcnt lgkmcnt(0)
	s_mov_b32 s8, 0x429ad128
	s_mov_b32 s9, 0xbfebfeb5
	;; [unrolled: 1-line block ×14, first 2 shown]
	s_waitcnt vmcnt(11)
	v_mul_f64 v[152:153], v[127:128], v[7:8]
	s_waitcnt vmcnt(10)
	v_mul_f64 v[85:86], v[55:56], v[11:12]
	v_mul_f64 v[141:142], v[53:54], v[11:12]
	;; [unrolled: 1-line block ×7, first 2 shown]
	s_waitcnt vmcnt(9)
	v_mul_f64 v[160:161], v[79:80], v[15:16]
	v_mul_f64 v[15:16], v[77:78], v[15:16]
	v_fma_f64 v[53:54], v[53:54], v[9:10], v[85:86]
	v_fma_f64 v[55:56], v[55:56], v[9:10], -v[141:142]
	v_fma_f64 v[85:86], v[125:126], v[5:6], v[152:153]
	v_fma_f64 v[125:126], v[127:128], v[5:6], -v[154:155]
	;; [unrolled: 2-line block ×3, first 2 shown]
	v_fma_f64 v[69:70], v[69:70], v[5:6], v[158:159]
	s_waitcnt vmcnt(8)
	v_mul_f64 v[9:10], v[75:76], v[19:20]
	v_fma_f64 v[71:72], v[71:72], v[5:6], -v[7:8]
	s_waitcnt vmcnt(7)
	v_mul_f64 v[5:6], v[81:82], v[23:24]
	s_waitcnt vmcnt(6)
	v_mul_f64 v[7:8], v[103:104], v[27:28]
	v_mul_f64 v[11:12], v[73:74], v[19:20]
	;; [unrolled: 1-line block ×3, first 2 shown]
	v_fma_f64 v[77:78], v[77:78], v[13:14], v[160:161]
	v_fma_f64 v[79:80], v[79:80], v[13:14], -v[15:16]
	v_fma_f64 v[73:74], v[73:74], v[17:18], v[9:10]
	v_mul_f64 v[9:10], v[101:102], v[27:28]
	v_fma_f64 v[83:84], v[83:84], v[21:22], -v[5:6]
	s_waitcnt vmcnt(4)
	v_mul_f64 v[5:6], v[111:112], v[35:36]
	v_fma_f64 v[101:102], v[101:102], v[25:26], v[7:8]
	v_mul_f64 v[7:8], v[107:108], v[31:32]
	v_mul_f64 v[13:14], v[105:106], v[31:32]
	s_waitcnt vmcnt(3)
	v_mul_f64 v[15:16], v[115:116], v[39:40]
	v_fma_f64 v[75:76], v[75:76], v[17:18], -v[11:12]
	v_mul_f64 v[11:12], v[109:110], v[35:36]
	v_fma_f64 v[103:104], v[103:104], v[25:26], -v[9:10]
	v_mul_f64 v[9:10], v[113:114], v[39:40]
	v_fma_f64 v[109:110], v[109:110], v[33:34], v[5:6]
	s_waitcnt vmcnt(2)
	v_mul_f64 v[5:6], v[135:136], v[43:44]
	v_fma_f64 v[105:106], v[105:106], v[29:30], v[7:8]
	v_fma_f64 v[107:108], v[107:108], v[29:30], -v[13:14]
	v_fma_f64 v[113:114], v[113:114], v[37:38], v[15:16]
	v_mul_f64 v[7:8], v[133:134], v[43:44]
	s_waitcnt vmcnt(0)
	v_mul_f64 v[13:14], v[139:140], v[51:52]
	v_mul_f64 v[15:16], v[137:138], v[51:52]
	v_fma_f64 v[81:82], v[81:82], v[21:22], v[19:20]
	v_fma_f64 v[111:112], v[111:112], v[33:34], -v[11:12]
	v_fma_f64 v[115:116], v[115:116], v[37:38], -v[9:10]
	v_mul_f64 v[9:10], v[131:132], v[47:48]
	v_add_f64 v[11:12], v[53:54], v[85:86]
	v_fma_f64 v[127:128], v[133:134], v[41:42], v[5:6]
	v_mul_f64 v[5:6], v[129:130], v[47:48]
	v_fma_f64 v[133:134], v[135:136], v[41:42], -v[7:8]
	v_fma_f64 v[135:136], v[137:138], v[49:50], v[13:14]
	v_fma_f64 v[137:138], v[139:140], v[49:50], -v[15:16]
	v_add_f64 v[13:14], v[55:56], v[125:126]
	v_add_f64 v[15:16], v[57:58], v[69:70]
	;; [unrolled: 1-line block ×7, first 2 shown]
	v_fma_f64 v[129:130], v[129:130], v[45:46], v[9:10]
	v_fma_f64 v[11:12], v[11:12], -0.5, v[61:62]
	v_add_f64 v[17:18], v[55:56], -v[125:126]
	v_fma_f64 v[131:132], v[131:132], v[45:46], -v[5:6]
	v_fma_f64 v[19:20], v[13:14], -0.5, v[63:64]
	v_add_f64 v[21:22], v[53:54], -v[85:86]
	v_fma_f64 v[25:26], v[15:16], -0.5, v[148:149]
	v_add_f64 v[27:28], v[59:60], -v[71:72]
	;; [unrolled: 2-line block ×4, first 2 shown]
	v_add_f64 v[29:30], v[35:36], v[73:74]
	v_add_f64 v[35:36], v[81:82], v[101:102]
	v_fma_f64 v[43:44], v[37:38], -0.5, v[67:68]
	v_add_f64 v[45:46], v[77:78], -v[73:74]
	v_add_f64 v[47:48], v[83:84], v[103:104]
	v_add_f64 v[53:54], v[95:96], v[83:84]
	;; [unrolled: 1-line block ×3, first 2 shown]
	v_fma_f64 v[9:10], v[17:18], s[4:5], v[11:12]
	v_add_f64 v[7:8], v[63:64], v[55:56]
	v_fma_f64 v[13:14], v[17:18], s[6:7], v[11:12]
	v_add_f64 v[17:18], v[148:149], v[57:58]
	v_fma_f64 v[11:12], v[21:22], s[6:7], v[19:20]
	v_fma_f64 v[15:16], v[21:22], s[4:5], v[19:20]
	v_add_f64 v[19:20], v[150:151], v[59:60]
	v_fma_f64 v[21:22], v[27:28], s[4:5], v[25:26]
	v_fma_f64 v[25:26], v[27:28], s[6:7], v[25:26]
	;; [unrolled: 1-line block ×6, first 2 shown]
	v_fma_f64 v[49:50], v[35:36], -0.5, v[93:94]
	v_add_f64 v[51:52], v[83:84], -v[103:104]
	v_fma_f64 v[35:36], v[45:46], s[6:7], v[43:44]
	v_fma_f64 v[39:40], v[45:46], s[4:5], v[43:44]
	v_add_f64 v[55:56], v[109:110], v[105:106]
	v_fma_f64 v[57:58], v[47:48], -0.5, v[95:96]
	v_add_f64 v[59:60], v[81:82], -v[101:102]
	v_add_f64 v[43:44], v[53:54], v[103:104]
	v_add_f64 v[53:54], v[111:112], v[107:108]
	;; [unrolled: 1-line block ×6, first 2 shown]
	v_fma_f64 v[45:46], v[51:52], s[4:5], v[49:50]
	v_fma_f64 v[49:50], v[51:52], s[6:7], v[49:50]
	v_add_f64 v[61:62], v[97:98], v[109:110]
	v_fma_f64 v[55:56], v[55:56], -0.5, v[97:98]
	v_add_f64 v[63:64], v[111:112], -v[107:108]
	v_fma_f64 v[47:48], v[59:60], s[6:7], v[57:58]
	v_fma_f64 v[51:52], v[59:60], s[4:5], v[57:58]
	v_add_f64 v[59:60], v[99:100], v[111:112]
	v_fma_f64 v[67:68], v[53:54], -0.5, v[99:100]
	v_add_f64 v[69:70], v[109:110], -v[105:106]
	v_add_f64 v[71:72], v[117:118], v[113:114]
	v_add_f64 v[31:32], v[31:32], v[75:76]
	v_fma_f64 v[73:74], v[65:66], -0.5, v[117:118]
	v_add_f64 v[75:76], v[115:116], -v[133:134]
	v_add_f64 v[77:78], v[115:116], v[133:134]
	v_add_f64 v[53:54], v[61:62], v[105:106]
	v_fma_f64 v[57:58], v[63:64], s[4:5], v[55:56]
	v_fma_f64 v[61:62], v[63:64], s[6:7], v[55:56]
	v_add_f64 v[55:56], v[59:60], v[107:108]
	v_fma_f64 v[59:60], v[69:70], s[6:7], v[67:68]
	v_fma_f64 v[63:64], v[69:70], s[4:5], v[67:68]
	v_add_f64 v[65:66], v[71:72], v[127:128]
	v_add_f64 v[67:68], v[129:130], v[135:136]
	;; [unrolled: 1-line block ×5, first 2 shown]
	v_fma_f64 v[69:70], v[75:76], s[4:5], v[73:74]
	v_fma_f64 v[73:74], v[75:76], s[6:7], v[73:74]
	v_add_f64 v[75:76], v[119:120], v[115:116]
	v_fma_f64 v[77:78], v[77:78], -0.5, v[119:120]
	v_add_f64 v[79:80], v[113:114], -v[127:128]
	v_add_f64 v[81:82], v[121:122], v[129:130]
	v_add_f64 v[95:96], v[123:124], v[131:132]
	v_fma_f64 v[83:84], v[67:68], -0.5, v[121:122]
	v_add_f64 v[85:86], v[131:132], -v[137:138]
	v_fma_f64 v[97:98], v[71:72], -0.5, v[123:124]
	v_add_f64 v[99:100], v[129:130], -v[135:136]
	v_add_f64 v[41:42], v[41:42], v[101:102]
	ds_write_b128 v144, v[5:8]
	ds_write_b128 v144, v[9:12] offset:208
	ds_write_b128 v144, v[13:16] offset:416
	;; [unrolled: 1-line block ×5, first 2 shown]
	v_mov_b32_e32 v5, 4
	v_add_f64 v[67:68], v[75:76], v[133:134]
	v_lshlrev_b32_sdwa v0, v5, v0 dst_sel:DWORD dst_unused:UNUSED_PAD src0_sel:DWORD src1_sel:BYTE_0
	v_fma_f64 v[71:72], v[79:80], s[6:7], v[77:78]
	v_add3_u32 v0, 0, v0, v147
	v_fma_f64 v[75:76], v[79:80], s[4:5], v[77:78]
	v_add_f64 v[77:78], v[81:82], v[135:136]
	v_add_f64 v[79:80], v[95:96], v[137:138]
	ds_write_b128 v0, v[29:32] offset:1248
	ds_write_b128 v0, v[33:36] offset:1456
	;; [unrolled: 1-line block ×3, first 2 shown]
	v_lshlrev_b32_sdwa v0, v5, v4 dst_sel:DWORD dst_unused:UNUSED_PAD src0_sel:DWORD src1_sel:BYTE_0
	v_fma_f64 v[81:82], v[85:86], s[4:5], v[83:84]
	v_fma_f64 v[93:94], v[85:86], s[6:7], v[83:84]
	;; [unrolled: 1-line block ×3, first 2 shown]
	v_add3_u32 v0, 0, v0, v147
	v_fma_f64 v[95:96], v[99:100], s[4:5], v[97:98]
	ds_write_b128 v0, v[41:44] offset:1872
	ds_write_b128 v0, v[45:48] offset:2080
	ds_write_b128 v0, v[49:52] offset:2288
	v_lshlrev_b32_sdwa v0, v5, v87 dst_sel:DWORD dst_unused:UNUSED_PAD src0_sel:DWORD src1_sel:BYTE_0
	v_add3_u32 v0, 0, v0, v147
	ds_write_b128 v0, v[53:56] offset:2496
	ds_write_b128 v0, v[57:60] offset:2704
	ds_write_b128 v0, v[61:64] offset:2912
	v_lshlrev_b32_sdwa v0, v5, v162 dst_sel:DWORD dst_unused:UNUSED_PAD src0_sel:DWORD src1_sel:BYTE_0
	v_add3_u32 v0, 0, v0, v147
	;; [unrolled: 5-line block ×3, first 2 shown]
	ds_write_b128 v0, v[77:80] offset:3744
	ds_write_b128 v0, v[81:84] offset:3952
	;; [unrolled: 1-line block ×3, first 2 shown]
	v_mul_u32_u24_e32 v0, 6, v90
	v_lshlrev_b32_e32 v78, 4, v0
	s_waitcnt lgkmcnt(0)
	; wave barrier
	s_waitcnt lgkmcnt(0)
	global_load_dwordx4 v[4:7], v78, s[12:13] offset:416
	global_load_dwordx4 v[8:11], v78, s[12:13] offset:432
	global_load_dwordx4 v[12:15], v78, s[12:13] offset:448
	global_load_dwordx4 v[16:19], v78, s[12:13] offset:464
	global_load_dwordx4 v[20:23], v78, s[12:13] offset:480
	global_load_dwordx4 v[24:27], v78, s[12:13] offset:496
	v_mul_i32_i24_e32 v0, 6, v146
	v_lshlrev_b64 v[28:29], 4, v[0:1]
	s_mov_b32 s6, 0x37e14327
	v_add_co_u32_e32 v76, vcc, s12, v28
	v_addc_co_u32_e32 v77, vcc, v3, v29, vcc
	global_load_dwordx4 v[28:31], v[76:77], off offset:416
	global_load_dwordx4 v[32:35], v[76:77], off offset:432
	;; [unrolled: 1-line block ×6, first 2 shown]
	global_load_dwordx4 v[52:55], v78, s[12:13] offset:2912
	global_load_dwordx4 v[56:59], v78, s[12:13] offset:2928
	global_load_dwordx4 v[60:63], v78, s[12:13] offset:2944
	global_load_dwordx4 v[64:67], v78, s[12:13] offset:2960
	global_load_dwordx4 v[68:71], v78, s[12:13] offset:2992
	global_load_dwordx4 v[72:75], v78, s[12:13] offset:2976
	ds_read_b128 v[76:79], v2
	ds_read_b128 v[80:83], v144 offset:624
	ds_read_b128 v[84:87], v144 offset:832
	ds_read_b128 v[93:96], v144 offset:1872
	ds_read_b128 v[97:100], v144 offset:2080
	ds_read_b128 v[101:104], v144 offset:3120
	ds_read_b128 v[105:108], v144 offset:3328
	ds_read_b128 v[109:112], v145
	ds_read_b128 v[113:116], v144 offset:416
	ds_read_b128 v[117:120], v144 offset:1248
	;; [unrolled: 1-line block ×13, first 2 shown]
	s_mov_b32 s4, 0x36b3c0b5
	s_mov_b32 s12, 0xe976ee23
	;; [unrolled: 1-line block ×5, first 2 shown]
	s_waitcnt lgkmcnt(0)
	; wave barrier
	s_waitcnt vmcnt(17) lgkmcnt(0)
	v_mul_f64 v[141:142], v[82:83], v[6:7]
	v_mul_f64 v[6:7], v[80:81], v[6:7]
	s_waitcnt vmcnt(13)
	v_mul_f64 v[169:170], v[103:104], v[22:23]
	v_mul_f64 v[22:23], v[101:102], v[22:23]
	v_fma_f64 v[80:81], v[80:81], v[4:5], v[141:142]
	v_fma_f64 v[3:4], v[82:83], v[4:5], -v[6:7]
	v_mul_f64 v[5:6], v[119:120], v[10:11]
	v_mul_f64 v[10:11], v[117:118], v[10:11]
	;; [unrolled: 1-line block ×6, first 2 shown]
	v_fma_f64 v[5:6], v[117:118], v[8:9], v[5:6]
	v_fma_f64 v[7:8], v[119:120], v[8:9], -v[10:11]
	v_fma_f64 v[9:10], v[93:94], v[12:13], v[82:83]
	v_fma_f64 v[11:12], v[95:96], v[12:13], -v[14:15]
	;; [unrolled: 2-line block ×4, first 2 shown]
	s_waitcnt vmcnt(12)
	v_mul_f64 v[21:22], v[155:156], v[26:27]
	v_mul_f64 v[26:27], v[153:154], v[26:27]
	s_waitcnt vmcnt(11)
	v_mul_f64 v[82:83], v[86:87], v[30:31]
	v_mul_f64 v[30:31], v[84:85], v[30:31]
	;; [unrolled: 3-line block ×4, first 2 shown]
	v_fma_f64 v[21:22], v[153:154], v[24:25], v[21:22]
	v_fma_f64 v[23:24], v[155:156], v[24:25], -v[26:27]
	v_fma_f64 v[82:83], v[84:85], v[28:29], v[82:83]
	v_fma_f64 v[27:28], v[86:87], v[28:29], -v[30:31]
	v_fma_f64 v[29:30], v[125:126], v[32:33], v[93:94]
	v_fma_f64 v[31:32], v[127:128], v[32:33], -v[34:35]
	v_fma_f64 v[33:34], v[97:98], v[36:37], v[95:96]
	v_fma_f64 v[35:36], v[99:100], v[36:37], -v[38:39]
	s_waitcnt vmcnt(8)
	v_mul_f64 v[25:26], v[147:148], v[42:43]
	v_mul_f64 v[37:38], v[145:146], v[42:43]
	s_waitcnt vmcnt(7)
	v_mul_f64 v[42:43], v[107:108], v[46:47]
	v_mul_f64 v[46:47], v[105:106], v[46:47]
	;; [unrolled: 3-line block ×4, first 2 shown]
	v_fma_f64 v[93:94], v[145:146], v[40:41], v[25:26]
	v_fma_f64 v[37:38], v[147:148], v[40:41], -v[37:38]
	v_fma_f64 v[39:40], v[105:106], v[44:45], v[42:43]
	v_fma_f64 v[41:42], v[107:108], v[44:45], -v[46:47]
	;; [unrolled: 2-line block ×4, first 2 shown]
	s_waitcnt vmcnt(3)
	v_mul_f64 v[49:50], v[139:140], v[62:63]
	v_mul_f64 v[51:52], v[137:138], v[62:63]
	s_waitcnt vmcnt(2)
	v_mul_f64 v[53:54], v[151:152], v[66:67]
	v_mul_f64 v[25:26], v[131:132], v[58:59]
	;; [unrolled: 1-line block ×4, first 2 shown]
	s_waitcnt vmcnt(0)
	v_mul_f64 v[62:63], v[159:160], v[74:75]
	v_mul_f64 v[66:67], v[157:158], v[74:75]
	v_fma_f64 v[95:96], v[137:138], v[60:61], v[49:50]
	v_fma_f64 v[60:61], v[139:140], v[60:61], -v[51:52]
	v_fma_f64 v[97:98], v[149:150], v[64:65], v[53:54]
	v_add_f64 v[49:50], v[80:81], v[21:22]
	v_add_f64 v[51:52], v[3:4], v[23:24]
	v_add_f64 v[3:4], v[3:4], -v[23:24]
	v_add_f64 v[23:24], v[5:6], v[17:18]
	v_add_f64 v[53:54], v[7:8], v[19:20]
	v_add_f64 v[21:22], v[80:81], -v[21:22]
	v_add_f64 v[5:6], v[5:6], -v[17:18]
	;; [unrolled: 1-line block ×3, first 2 shown]
	v_add_f64 v[17:18], v[9:10], v[13:14]
	v_add_f64 v[19:20], v[11:12], v[15:16]
	v_add_f64 v[9:10], v[13:14], -v[9:10]
	v_add_f64 v[11:12], v[15:16], -v[11:12]
	v_add_f64 v[13:14], v[23:24], v[49:50]
	v_add_f64 v[15:16], v[53:54], v[51:52]
	v_fma_f64 v[74:75], v[129:130], v[56:57], v[25:26]
	v_fma_f64 v[55:56], v[131:132], v[56:57], -v[47:48]
	v_fma_f64 v[57:58], v[151:152], v[64:65], -v[58:59]
	v_fma_f64 v[62:63], v[157:158], v[72:73], v[62:63]
	v_fma_f64 v[64:65], v[159:160], v[72:73], -v[66:67]
	v_mul_f64 v[25:26], v[167:168], v[70:71]
	v_mul_f64 v[47:48], v[165:166], v[70:71]
	v_add_f64 v[66:67], v[23:24], -v[49:50]
	v_add_f64 v[70:71], v[53:54], -v[51:52]
	;; [unrolled: 1-line block ×6, first 2 shown]
	v_add_f64 v[72:73], v[9:10], v[5:6]
	v_add_f64 v[80:81], v[11:12], v[7:8]
	v_add_f64 v[99:100], v[9:10], -v[5:6]
	v_add_f64 v[101:102], v[11:12], -v[7:8]
	v_add_f64 v[13:14], v[17:18], v[13:14]
	v_add_f64 v[15:16], v[19:20], v[15:16]
	v_add_f64 v[17:18], v[5:6], -v[21:22]
	v_add_f64 v[7:8], v[7:8], -v[3:4]
	;; [unrolled: 1-line block ×4, first 2 shown]
	v_add_f64 v[19:20], v[72:73], v[21:22]
	v_add_f64 v[21:22], v[80:81], v[3:4]
	;; [unrolled: 1-line block ×4, first 2 shown]
	v_mul_f64 v[49:50], v[49:50], s[6:7]
	v_mul_f64 v[51:52], v[51:52], s[6:7]
	;; [unrolled: 1-line block ×8, first 2 shown]
	v_fma_f64 v[13:14], v[13:14], s[14:15], v[3:4]
	v_fma_f64 v[15:16], v[15:16], s[14:15], v[5:6]
	;; [unrolled: 1-line block ×4, first 2 shown]
	v_fma_f64 v[72:73], v[66:67], s[16:17], -v[72:73]
	v_fma_f64 v[80:81], v[70:71], s[16:17], -v[80:81]
	;; [unrolled: 1-line block ×4, first 2 shown]
	v_fma_f64 v[66:67], v[9:10], s[20:21], v[99:100]
	v_fma_f64 v[70:71], v[11:12], s[20:21], v[101:102]
	v_fma_f64 v[7:8], v[7:8], s[8:9], -v[101:102]
	v_fma_f64 v[9:10], v[9:10], s[24:25], -v[103:104]
	;; [unrolled: 1-line block ×4, first 2 shown]
	v_add_f64 v[99:100], v[23:24], v[13:14]
	v_add_f64 v[23:24], v[72:73], v[13:14]
	;; [unrolled: 1-line block ×5, first 2 shown]
	v_fma_f64 v[70:71], v[21:22], s[22:23], v[70:71]
	v_fma_f64 v[80:81], v[21:22], s[22:23], v[11:12]
	;; [unrolled: 1-line block ×4, first 2 shown]
	v_add_f64 v[53:54], v[53:54], v[15:16]
	v_fma_f64 v[66:67], v[19:20], s[22:23], v[66:67]
	v_fma_f64 v[103:104], v[19:20], s[22:23], v[17:18]
	;; [unrolled: 1-line block ×3, first 2 shown]
	v_fma_f64 v[68:69], v[167:168], v[68:69], -v[47:48]
	v_add_f64 v[11:12], v[80:81], v[49:50]
	v_add_f64 v[13:14], v[51:52], -v[101:102]
	v_add_f64 v[15:16], v[23:24], -v[21:22]
	v_add_f64 v[19:20], v[21:22], v[23:24]
	v_add_f64 v[23:24], v[49:50], -v[80:81]
	v_add_f64 v[25:26], v[101:102], v[51:52]
	v_add_f64 v[47:48], v[82:83], v[43:44]
	;; [unrolled: 1-line block ×3, first 2 shown]
	v_add_f64 v[27:28], v[27:28], -v[45:46]
	v_add_f64 v[45:46], v[29:30], v[39:40]
	v_add_f64 v[51:52], v[31:32], v[41:42]
	;; [unrolled: 1-line block ×3, first 2 shown]
	v_add_f64 v[21:22], v[72:73], -v[103:104]
	v_add_f64 v[29:30], v[29:30], -v[39:40]
	v_add_f64 v[31:32], v[31:32], -v[41:42]
	v_add_f64 v[39:40], v[33:34], v[93:94]
	v_add_f64 v[41:42], v[35:36], v[37:38]
	v_add_f64 v[33:34], v[93:94], -v[33:34]
	v_add_f64 v[35:36], v[37:38], -v[35:36]
	v_add_f64 v[37:38], v[45:46], v[47:48]
	v_add_f64 v[72:73], v[51:52], v[49:50]
	v_add_f64 v[43:44], v[82:83], -v[43:44]
	v_add_f64 v[80:81], v[45:46], -v[47:48]
	;; [unrolled: 1-line block ×7, first 2 shown]
	v_add_f64 v[93:94], v[33:34], v[29:30]
	v_add_f64 v[101:102], v[35:36], v[31:32]
	v_add_f64 v[103:104], v[33:34], -v[29:30]
	v_add_f64 v[107:108], v[35:36], -v[31:32]
	v_add_f64 v[37:38], v[39:40], v[37:38]
	v_add_f64 v[39:40], v[41:42], v[72:73]
	v_add_f64 v[31:32], v[31:32], -v[27:28]
	v_add_f64 v[33:34], v[43:44], -v[33:34]
	;; [unrolled: 1-line block ×4, first 2 shown]
	v_add_f64 v[43:44], v[93:94], v[43:44]
	v_add_f64 v[72:73], v[101:102], v[27:28]
	;; [unrolled: 1-line block ×4, first 2 shown]
	v_mul_f64 v[47:48], v[47:48], s[6:7]
	v_mul_f64 v[49:50], v[49:50], s[6:7]
	;; [unrolled: 1-line block ×8, first 2 shown]
	v_fma_f64 v[37:38], v[37:38], s[14:15], v[27:28]
	v_fma_f64 v[39:40], v[39:40], s[14:15], v[29:30]
	;; [unrolled: 1-line block ×4, first 2 shown]
	v_fma_f64 v[76:77], v[80:81], s[16:17], -v[76:77]
	v_fma_f64 v[78:79], v[82:83], s[16:17], -v[78:79]
	;; [unrolled: 1-line block ×4, first 2 shown]
	v_fma_f64 v[82:83], v[35:36], s[20:21], v[101:102]
	v_fma_f64 v[41:42], v[41:42], s[8:9], -v[93:94]
	v_fma_f64 v[31:32], v[31:32], s[8:9], -v[101:102]
	;; [unrolled: 1-line block ×3, first 2 shown]
	v_fma_f64 v[80:81], v[33:34], s[20:21], v[93:94]
	v_fma_f64 v[33:34], v[33:34], s[24:25], -v[103:104]
	v_add_f64 v[101:102], v[51:52], v[39:40]
	v_add_f64 v[51:52], v[76:77], v[37:38]
	;; [unrolled: 1-line block ×5, first 2 shown]
	v_fma_f64 v[107:108], v[72:73], s[22:23], v[35:36]
	v_fma_f64 v[47:48], v[72:73], s[22:23], v[31:32]
	;; [unrolled: 1-line block ×3, first 2 shown]
	v_add_f64 v[7:8], v[70:71], v[99:100]
	v_add_f64 v[9:10], v[53:54], -v[66:67]
	v_add_f64 v[93:94], v[45:46], v[37:38]
	v_fma_f64 v[80:81], v[43:44], s[22:23], v[80:81]
	v_fma_f64 v[109:110], v[43:44], s[22:23], v[33:34]
	v_add_f64 v[31:32], v[99:100], -v[70:71]
	v_add_f64 v[33:34], v[66:67], v[53:54]
	v_add_f64 v[39:40], v[107:108], v[78:79]
	v_add_f64 v[43:44], v[51:52], -v[47:48]
	v_add_f64 v[45:46], v[49:50], v[76:77]
	v_add_f64 v[47:48], v[47:48], v[51:52]
	v_add_f64 v[49:50], v[76:77], -v[49:50]
	v_add_f64 v[51:52], v[78:79], -v[107:108]
	v_add_f64 v[66:67], v[84:85], v[105:106]
	v_add_f64 v[70:71], v[86:87], v[68:69]
	;; [unrolled: 1-line block ×4, first 2 shown]
	v_fma_f64 v[82:83], v[72:73], s[22:23], v[82:83]
	v_add_f64 v[72:73], v[84:85], -v[105:106]
	v_add_f64 v[68:69], v[86:87], -v[68:69]
	;; [unrolled: 1-line block ×4, first 2 shown]
	v_add_f64 v[64:65], v[95:96], v[97:98]
	v_add_f64 v[74:75], v[60:61], v[57:58]
	v_add_f64 v[84:85], v[97:98], -v[95:96]
	v_add_f64 v[57:58], v[57:58], -v[60:61]
	v_add_f64 v[59:60], v[76:77], v[66:67]
	v_add_f64 v[86:87], v[78:79], v[70:71]
	v_add_f64 v[41:42], v[103:104], -v[109:110]
	v_add_f64 v[53:54], v[109:110], v[103:104]
	v_add_f64 v[95:96], v[76:77], -v[66:67]
	v_add_f64 v[97:98], v[78:79], -v[70:71]
	v_add_f64 v[66:67], v[66:67], -v[64:65]
	v_add_f64 v[70:71], v[70:71], -v[74:75]
	v_add_f64 v[76:77], v[64:65], -v[76:77]
	v_add_f64 v[78:79], v[74:75], -v[78:79]
	v_add_f64 v[99:100], v[84:85], v[62:63]
	v_add_f64 v[103:104], v[57:58], v[55:56]
	v_add_f64 v[105:106], v[84:85], -v[62:63]
	v_add_f64 v[107:108], v[57:58], -v[55:56]
	v_add_f64 v[59:60], v[64:65], v[59:60]
	v_add_f64 v[64:65], v[74:75], v[86:87]
	v_add_f64 v[61:62], v[62:63], -v[72:73]
	v_add_f64 v[86:87], v[55:56], -v[68:69]
	;; [unrolled: 1-line block ×4, first 2 shown]
	v_add_f64 v[72:73], v[99:100], v[72:73]
	v_add_f64 v[68:69], v[103:104], v[68:69]
	;; [unrolled: 1-line block ×4, first 2 shown]
	v_mul_f64 v[66:67], v[66:67], s[6:7]
	v_mul_f64 v[70:71], v[70:71], s[6:7]
	;; [unrolled: 1-line block ×8, first 2 shown]
	v_fma_f64 v[59:60], v[59:60], s[14:15], v[55:56]
	v_fma_f64 v[63:64], v[64:65], s[14:15], v[57:58]
	;; [unrolled: 1-line block ×4, first 2 shown]
	v_fma_f64 v[99:100], v[95:96], s[16:17], -v[99:100]
	v_fma_f64 v[103:104], v[97:98], s[16:17], -v[103:104]
	;; [unrolled: 1-line block ×4, first 2 shown]
	v_fma_f64 v[95:96], v[74:75], s[20:21], v[105:106]
	v_fma_f64 v[97:98], v[84:85], s[20:21], v[107:108]
	v_fma_f64 v[61:62], v[61:62], s[8:9], -v[105:106]
	v_fma_f64 v[86:87], v[86:87], s[8:9], -v[107:108]
	v_fma_f64 v[74:75], v[74:75], s[24:25], -v[109:110]
	v_fma_f64 v[84:85], v[84:85], s[24:25], -v[111:112]
	v_add_f64 v[105:106], v[76:77], v[59:60]
	v_add_f64 v[107:108], v[78:79], v[63:64]
	;; [unrolled: 1-line block ×6, first 2 shown]
	v_fma_f64 v[97:98], v[68:69], s[22:23], v[97:98]
	v_fma_f64 v[95:96], v[72:73], s[22:23], v[95:96]
	;; [unrolled: 1-line block ×6, first 2 shown]
	v_add_f64 v[35:36], v[82:83], v[93:94]
	v_add_f64 v[37:38], v[101:102], -v[80:81]
	v_add_f64 v[59:60], v[93:94], -v[82:83]
	v_add_f64 v[61:62], v[80:81], v[101:102]
	v_add_f64 v[63:64], v[97:98], v[105:106]
	v_add_f64 v[65:66], v[107:108], -v[95:96]
	v_add_f64 v[67:68], v[84:85], v[99:100]
	v_add_f64 v[69:70], v[103:104], -v[109:110]
	v_add_f64 v[71:72], v[76:77], -v[86:87]
	v_add_f64 v[73:74], v[111:112], v[78:79]
	v_add_f64 v[75:76], v[86:87], v[76:77]
	v_add_f64 v[77:78], v[78:79], -v[111:112]
	v_add_f64 v[79:80], v[99:100], -v[84:85]
	v_add_f64 v[81:82], v[109:110], v[103:104]
	v_add_f64 v[83:84], v[105:106], -v[97:98]
	v_add_f64 v[85:86], v[95:96], v[107:108]
	ds_write_b128 v144, v[3:6]
	ds_write_b128 v144, v[7:10] offset:624
	ds_write_b128 v144, v[11:14] offset:1248
	;; [unrolled: 1-line block ×6, first 2 shown]
	ds_write_b128 v2, v[27:30]
	ds_write_b128 v2, v[35:38] offset:624
	ds_write_b128 v2, v[39:42] offset:1248
	;; [unrolled: 1-line block ×13, first 2 shown]
	s_waitcnt lgkmcnt(0)
	; wave barrier
	s_waitcnt lgkmcnt(0)
	s_and_saveexec_b64 s[4:5], s[0:1]
	s_cbranch_execz .LBB0_17
; %bb.16:
	v_mul_lo_u32 v0, s3, v91
	v_mul_lo_u32 v2, s2, v92
	v_mad_u64_u32 v[6:7], s[0:1], s2, v91, 0
	v_lshl_add_u32 v12, v90, 4, v143
	v_mov_b32_e32 v91, v1
	v_add3_u32 v7, v7, v2, v0
	v_lshlrev_b64 v[6:7], 4, v[6:7]
	v_mov_b32_e32 v0, s11
	v_add_co_u32_e32 v8, vcc, s10, v6
	v_addc_co_u32_e32 v0, vcc, v0, v7, vcc
	v_lshlrev_b64 v[6:7], 4, v[88:89]
	ds_read_b128 v[2:5], v12
	v_add_co_u32_e32 v13, vcc, v8, v6
	v_addc_co_u32_e32 v14, vcc, v0, v7, vcc
	v_lshlrev_b64 v[6:7], 4, v[90:91]
	v_add_u32_e32 v0, 13, v90
	v_add_co_u32_e32 v10, vcc, v13, v6
	v_addc_co_u32_e32 v11, vcc, v14, v7, vcc
	ds_read_b128 v[6:9], v12 offset:208
	s_waitcnt lgkmcnt(1)
	global_store_dwordx4 v[10:11], v[2:5], off
	s_nop 0
	v_lshlrev_b64 v[2:3], 4, v[0:1]
	v_add_u32_e32 v0, 26, v90
	v_add_co_u32_e32 v2, vcc, v13, v2
	v_addc_co_u32_e32 v3, vcc, v14, v3, vcc
	s_waitcnt lgkmcnt(0)
	global_store_dwordx4 v[2:3], v[6:9], off
	ds_read_b128 v[2:5], v12 offset:416
	v_lshlrev_b64 v[6:7], 4, v[0:1]
	v_add_u32_e32 v0, 39, v90
	v_add_co_u32_e32 v10, vcc, v13, v6
	v_addc_co_u32_e32 v11, vcc, v14, v7, vcc
	ds_read_b128 v[6:9], v12 offset:624
	s_waitcnt lgkmcnt(1)
	global_store_dwordx4 v[10:11], v[2:5], off
	s_nop 0
	v_lshlrev_b64 v[2:3], 4, v[0:1]
	v_add_u32_e32 v0, 52, v90
	v_add_co_u32_e32 v2, vcc, v13, v2
	v_addc_co_u32_e32 v3, vcc, v14, v3, vcc
	s_waitcnt lgkmcnt(0)
	global_store_dwordx4 v[2:3], v[6:9], off
	ds_read_b128 v[2:5], v12 offset:832
	;; [unrolled: 15-line block ×10, first 2 shown]
	v_lshlrev_b64 v[0:1], 4, v[0:1]
	v_add_co_u32_e32 v0, vcc, v13, v0
	v_addc_co_u32_e32 v1, vcc, v14, v1, vcc
	s_waitcnt lgkmcnt(0)
	global_store_dwordx4 v[0:1], v[2:5], off
.LBB0_17:
	s_endpgm
	.section	.rodata,"a",@progbits
	.p2align	6, 0x0
	.amdhsa_kernel fft_rtc_back_len273_factors_13_3_7_wgs_52_tpt_13_dp_op_CI_CI_unitstride_sbrr_dirReg
		.amdhsa_group_segment_fixed_size 0
		.amdhsa_private_segment_fixed_size 0
		.amdhsa_kernarg_size 104
		.amdhsa_user_sgpr_count 6
		.amdhsa_user_sgpr_private_segment_buffer 1
		.amdhsa_user_sgpr_dispatch_ptr 0
		.amdhsa_user_sgpr_queue_ptr 0
		.amdhsa_user_sgpr_kernarg_segment_ptr 1
		.amdhsa_user_sgpr_dispatch_id 0
		.amdhsa_user_sgpr_flat_scratch_init 0
		.amdhsa_user_sgpr_private_segment_size 0
		.amdhsa_uses_dynamic_stack 0
		.amdhsa_system_sgpr_private_segment_wavefront_offset 0
		.amdhsa_system_sgpr_workgroup_id_x 1
		.amdhsa_system_sgpr_workgroup_id_y 0
		.amdhsa_system_sgpr_workgroup_id_z 0
		.amdhsa_system_sgpr_workgroup_info 0
		.amdhsa_system_vgpr_workitem_id 0
		.amdhsa_next_free_vgpr 190
		.amdhsa_next_free_sgpr 48
		.amdhsa_reserve_vcc 1
		.amdhsa_reserve_flat_scratch 0
		.amdhsa_float_round_mode_32 0
		.amdhsa_float_round_mode_16_64 0
		.amdhsa_float_denorm_mode_32 3
		.amdhsa_float_denorm_mode_16_64 3
		.amdhsa_dx10_clamp 1
		.amdhsa_ieee_mode 1
		.amdhsa_fp16_overflow 0
		.amdhsa_exception_fp_ieee_invalid_op 0
		.amdhsa_exception_fp_denorm_src 0
		.amdhsa_exception_fp_ieee_div_zero 0
		.amdhsa_exception_fp_ieee_overflow 0
		.amdhsa_exception_fp_ieee_underflow 0
		.amdhsa_exception_fp_ieee_inexact 0
		.amdhsa_exception_int_div_zero 0
	.end_amdhsa_kernel
	.text
.Lfunc_end0:
	.size	fft_rtc_back_len273_factors_13_3_7_wgs_52_tpt_13_dp_op_CI_CI_unitstride_sbrr_dirReg, .Lfunc_end0-fft_rtc_back_len273_factors_13_3_7_wgs_52_tpt_13_dp_op_CI_CI_unitstride_sbrr_dirReg
                                        ; -- End function
	.section	.AMDGPU.csdata,"",@progbits
; Kernel info:
; codeLenInByte = 15412
; NumSgprs: 52
; NumVgprs: 190
; ScratchSize: 0
; MemoryBound: 0
; FloatMode: 240
; IeeeMode: 1
; LDSByteSize: 0 bytes/workgroup (compile time only)
; SGPRBlocks: 6
; VGPRBlocks: 47
; NumSGPRsForWavesPerEU: 52
; NumVGPRsForWavesPerEU: 190
; Occupancy: 1
; WaveLimiterHint : 1
; COMPUTE_PGM_RSRC2:SCRATCH_EN: 0
; COMPUTE_PGM_RSRC2:USER_SGPR: 6
; COMPUTE_PGM_RSRC2:TRAP_HANDLER: 0
; COMPUTE_PGM_RSRC2:TGID_X_EN: 1
; COMPUTE_PGM_RSRC2:TGID_Y_EN: 0
; COMPUTE_PGM_RSRC2:TGID_Z_EN: 0
; COMPUTE_PGM_RSRC2:TIDIG_COMP_CNT: 0
	.type	__hip_cuid_839f24ea3a197b65,@object ; @__hip_cuid_839f24ea3a197b65
	.section	.bss,"aw",@nobits
	.globl	__hip_cuid_839f24ea3a197b65
__hip_cuid_839f24ea3a197b65:
	.byte	0                               ; 0x0
	.size	__hip_cuid_839f24ea3a197b65, 1

	.ident	"AMD clang version 19.0.0git (https://github.com/RadeonOpenCompute/llvm-project roc-6.4.0 25133 c7fe45cf4b819c5991fe208aaa96edf142730f1d)"
	.section	".note.GNU-stack","",@progbits
	.addrsig
	.addrsig_sym __hip_cuid_839f24ea3a197b65
	.amdgpu_metadata
---
amdhsa.kernels:
  - .args:
      - .actual_access:  read_only
        .address_space:  global
        .offset:         0
        .size:           8
        .value_kind:     global_buffer
      - .offset:         8
        .size:           8
        .value_kind:     by_value
      - .actual_access:  read_only
        .address_space:  global
        .offset:         16
        .size:           8
        .value_kind:     global_buffer
      - .actual_access:  read_only
        .address_space:  global
        .offset:         24
        .size:           8
        .value_kind:     global_buffer
      - .actual_access:  read_only
        .address_space:  global
        .offset:         32
        .size:           8
        .value_kind:     global_buffer
      - .offset:         40
        .size:           8
        .value_kind:     by_value
      - .actual_access:  read_only
        .address_space:  global
        .offset:         48
        .size:           8
        .value_kind:     global_buffer
      - .actual_access:  read_only
        .address_space:  global
        .offset:         56
        .size:           8
        .value_kind:     global_buffer
      - .offset:         64
        .size:           4
        .value_kind:     by_value
      - .actual_access:  read_only
        .address_space:  global
        .offset:         72
        .size:           8
        .value_kind:     global_buffer
      - .actual_access:  read_only
        .address_space:  global
        .offset:         80
        .size:           8
        .value_kind:     global_buffer
      - .actual_access:  read_only
        .address_space:  global
        .offset:         88
        .size:           8
        .value_kind:     global_buffer
      - .actual_access:  write_only
        .address_space:  global
        .offset:         96
        .size:           8
        .value_kind:     global_buffer
    .group_segment_fixed_size: 0
    .kernarg_segment_align: 8
    .kernarg_segment_size: 104
    .language:       OpenCL C
    .language_version:
      - 2
      - 0
    .max_flat_workgroup_size: 52
    .name:           fft_rtc_back_len273_factors_13_3_7_wgs_52_tpt_13_dp_op_CI_CI_unitstride_sbrr_dirReg
    .private_segment_fixed_size: 0
    .sgpr_count:     52
    .sgpr_spill_count: 0
    .symbol:         fft_rtc_back_len273_factors_13_3_7_wgs_52_tpt_13_dp_op_CI_CI_unitstride_sbrr_dirReg.kd
    .uniform_work_group_size: 1
    .uses_dynamic_stack: false
    .vgpr_count:     190
    .vgpr_spill_count: 0
    .wavefront_size: 64
amdhsa.target:   amdgcn-amd-amdhsa--gfx906
amdhsa.version:
  - 1
  - 2
...

	.end_amdgpu_metadata
